;; amdgpu-corpus repo=ROCm/rocFFT kind=compiled arch=gfx906 opt=O3
	.text
	.amdgcn_target "amdgcn-amd-amdhsa--gfx906"
	.amdhsa_code_object_version 6
	.protected	fft_rtc_fwd_len884_factors_13_4_17_wgs_204_tpt_68_halfLds_dp_op_CI_CI_unitstride_sbrr_R2C_dirReg ; -- Begin function fft_rtc_fwd_len884_factors_13_4_17_wgs_204_tpt_68_halfLds_dp_op_CI_CI_unitstride_sbrr_R2C_dirReg
	.globl	fft_rtc_fwd_len884_factors_13_4_17_wgs_204_tpt_68_halfLds_dp_op_CI_CI_unitstride_sbrr_R2C_dirReg
	.p2align	8
	.type	fft_rtc_fwd_len884_factors_13_4_17_wgs_204_tpt_68_halfLds_dp_op_CI_CI_unitstride_sbrr_R2C_dirReg,@function
fft_rtc_fwd_len884_factors_13_4_17_wgs_204_tpt_68_halfLds_dp_op_CI_CI_unitstride_sbrr_R2C_dirReg: ; @fft_rtc_fwd_len884_factors_13_4_17_wgs_204_tpt_68_halfLds_dp_op_CI_CI_unitstride_sbrr_R2C_dirReg
; %bb.0:
	s_load_dwordx4 s[8:11], s[4:5], 0x58
	s_load_dwordx4 s[12:15], s[4:5], 0x0
	;; [unrolled: 1-line block ×3, first 2 shown]
	v_mul_u32_u24_e32 v1, 0x3c4, v0
	v_lshrrev_b32_e32 v1, 16, v1
	v_mad_u64_u32 v[3:4], s[0:1], s6, 3, v[1:2]
	v_mov_b32_e32 v5, 0
	v_mov_b32_e32 v1, 0
	;; [unrolled: 1-line block ×3, first 2 shown]
	s_waitcnt lgkmcnt(0)
	v_cmp_lt_u64_e64 s[0:1], s[14:15], 2
	v_mov_b32_e32 v2, 0
	v_mov_b32_e32 v93, v2
	;; [unrolled: 1-line block ×3, first 2 shown]
	s_and_b64 vcc, exec, s[0:1]
	v_mov_b32_e32 v92, v1
	v_mov_b32_e32 v96, v3
	s_cbranch_vccnz .LBB0_8
; %bb.1:
	s_load_dwordx2 s[0:1], s[4:5], 0x10
	s_add_u32 s2, s18, 8
	s_addc_u32 s3, s19, 0
	s_add_u32 s6, s16, 8
	v_mov_b32_e32 v1, 0
	s_addc_u32 s7, s17, 0
	v_mov_b32_e32 v2, 0
	s_waitcnt lgkmcnt(0)
	s_add_u32 s20, s0, 8
	v_mov_b32_e32 v93, v2
	v_mov_b32_e32 v8, v4
	s_addc_u32 s21, s1, 0
	s_mov_b64 s[22:23], 1
	v_mov_b32_e32 v92, v1
	v_mov_b32_e32 v7, v3
.LBB0_2:                                ; =>This Inner Loop Header: Depth=1
	s_load_dwordx2 s[24:25], s[20:21], 0x0
                                        ; implicit-def: $vgpr96_vgpr97
	s_waitcnt lgkmcnt(0)
	v_or_b32_e32 v6, s25, v8
	v_cmp_ne_u64_e32 vcc, 0, v[5:6]
	s_and_saveexec_b64 s[0:1], vcc
	s_xor_b64 s[26:27], exec, s[0:1]
	s_cbranch_execz .LBB0_4
; %bb.3:                                ;   in Loop: Header=BB0_2 Depth=1
	v_cvt_f32_u32_e32 v4, s24
	v_cvt_f32_u32_e32 v6, s25
	s_sub_u32 s0, 0, s24
	s_subb_u32 s1, 0, s25
	v_mac_f32_e32 v4, 0x4f800000, v6
	v_rcp_f32_e32 v4, v4
	v_mul_f32_e32 v4, 0x5f7ffffc, v4
	v_mul_f32_e32 v6, 0x2f800000, v4
	v_trunc_f32_e32 v6, v6
	v_mac_f32_e32 v4, 0xcf800000, v6
	v_cvt_u32_f32_e32 v6, v6
	v_cvt_u32_f32_e32 v4, v4
	v_mul_lo_u32 v9, s0, v6
	v_mul_hi_u32 v10, s0, v4
	v_mul_lo_u32 v12, s1, v4
	v_mul_lo_u32 v11, s0, v4
	v_add_u32_e32 v9, v10, v9
	v_add_u32_e32 v9, v9, v12
	v_mul_hi_u32 v10, v4, v11
	v_mul_lo_u32 v12, v4, v9
	v_mul_hi_u32 v14, v4, v9
	v_mul_hi_u32 v13, v6, v11
	v_mul_lo_u32 v11, v6, v11
	v_mul_hi_u32 v15, v6, v9
	v_add_co_u32_e32 v10, vcc, v10, v12
	v_addc_co_u32_e32 v12, vcc, 0, v14, vcc
	v_mul_lo_u32 v9, v6, v9
	v_add_co_u32_e32 v10, vcc, v10, v11
	v_addc_co_u32_e32 v10, vcc, v12, v13, vcc
	v_addc_co_u32_e32 v11, vcc, 0, v15, vcc
	v_add_co_u32_e32 v9, vcc, v10, v9
	v_addc_co_u32_e32 v10, vcc, 0, v11, vcc
	v_add_co_u32_e32 v4, vcc, v4, v9
	v_addc_co_u32_e32 v6, vcc, v6, v10, vcc
	v_mul_lo_u32 v9, s0, v6
	v_mul_hi_u32 v10, s0, v4
	v_mul_lo_u32 v11, s1, v4
	v_mul_lo_u32 v12, s0, v4
	v_add_u32_e32 v9, v10, v9
	v_add_u32_e32 v9, v9, v11
	v_mul_lo_u32 v13, v4, v9
	v_mul_hi_u32 v14, v4, v12
	v_mul_hi_u32 v15, v4, v9
	;; [unrolled: 1-line block ×3, first 2 shown]
	v_mul_lo_u32 v12, v6, v12
	v_mul_hi_u32 v10, v6, v9
	v_add_co_u32_e32 v13, vcc, v14, v13
	v_addc_co_u32_e32 v14, vcc, 0, v15, vcc
	v_mul_lo_u32 v9, v6, v9
	v_add_co_u32_e32 v12, vcc, v13, v12
	v_addc_co_u32_e32 v11, vcc, v14, v11, vcc
	v_addc_co_u32_e32 v10, vcc, 0, v10, vcc
	v_add_co_u32_e32 v9, vcc, v11, v9
	v_addc_co_u32_e32 v10, vcc, 0, v10, vcc
	v_add_co_u32_e32 v4, vcc, v4, v9
	v_addc_co_u32_e32 v6, vcc, v6, v10, vcc
	v_mad_u64_u32 v[9:10], s[0:1], v7, v6, 0
	v_mul_hi_u32 v11, v7, v4
	v_add_co_u32_e32 v13, vcc, v11, v9
	v_addc_co_u32_e32 v14, vcc, 0, v10, vcc
	v_mad_u64_u32 v[9:10], s[0:1], v8, v4, 0
	v_mad_u64_u32 v[11:12], s[0:1], v8, v6, 0
	v_add_co_u32_e32 v4, vcc, v13, v9
	v_addc_co_u32_e32 v4, vcc, v14, v10, vcc
	v_addc_co_u32_e32 v6, vcc, 0, v12, vcc
	v_add_co_u32_e32 v4, vcc, v4, v11
	v_addc_co_u32_e32 v6, vcc, 0, v6, vcc
	v_mul_lo_u32 v11, s25, v4
	v_mul_lo_u32 v12, s24, v6
	v_mad_u64_u32 v[9:10], s[0:1], s24, v4, 0
	v_add3_u32 v10, v10, v12, v11
	v_sub_u32_e32 v11, v8, v10
	v_mov_b32_e32 v12, s25
	v_sub_co_u32_e32 v9, vcc, v7, v9
	v_subb_co_u32_e64 v11, s[0:1], v11, v12, vcc
	v_subrev_co_u32_e64 v12, s[0:1], s24, v9
	v_subbrev_co_u32_e64 v11, s[0:1], 0, v11, s[0:1]
	v_cmp_le_u32_e64 s[0:1], s25, v11
	v_cndmask_b32_e64 v13, 0, -1, s[0:1]
	v_cmp_le_u32_e64 s[0:1], s24, v12
	v_cndmask_b32_e64 v12, 0, -1, s[0:1]
	v_cmp_eq_u32_e64 s[0:1], s25, v11
	v_cndmask_b32_e64 v11, v13, v12, s[0:1]
	v_add_co_u32_e64 v12, s[0:1], 2, v4
	v_addc_co_u32_e64 v13, s[0:1], 0, v6, s[0:1]
	v_add_co_u32_e64 v14, s[0:1], 1, v4
	v_addc_co_u32_e64 v15, s[0:1], 0, v6, s[0:1]
	v_subb_co_u32_e32 v10, vcc, v8, v10, vcc
	v_cmp_ne_u32_e64 s[0:1], 0, v11
	v_cmp_le_u32_e32 vcc, s25, v10
	v_cndmask_b32_e64 v11, v15, v13, s[0:1]
	v_cndmask_b32_e64 v13, 0, -1, vcc
	v_cmp_le_u32_e32 vcc, s24, v9
	v_cndmask_b32_e64 v9, 0, -1, vcc
	v_cmp_eq_u32_e32 vcc, s25, v10
	v_cndmask_b32_e32 v9, v13, v9, vcc
	v_cmp_ne_u32_e32 vcc, 0, v9
	v_cndmask_b32_e32 v97, v6, v11, vcc
	v_cndmask_b32_e64 v6, v14, v12, s[0:1]
	v_cndmask_b32_e32 v96, v4, v6, vcc
.LBB0_4:                                ;   in Loop: Header=BB0_2 Depth=1
	s_andn2_saveexec_b64 s[0:1], s[26:27]
	s_cbranch_execz .LBB0_6
; %bb.5:                                ;   in Loop: Header=BB0_2 Depth=1
	v_cvt_f32_u32_e32 v4, s24
	s_sub_i32 s26, 0, s24
	v_mov_b32_e32 v97, v5
	v_rcp_iflag_f32_e32 v4, v4
	v_mul_f32_e32 v4, 0x4f7ffffe, v4
	v_cvt_u32_f32_e32 v4, v4
	v_mul_lo_u32 v6, s26, v4
	v_mul_hi_u32 v6, v4, v6
	v_add_u32_e32 v4, v4, v6
	v_mul_hi_u32 v4, v7, v4
	v_mul_lo_u32 v6, v4, s24
	v_add_u32_e32 v9, 1, v4
	v_sub_u32_e32 v6, v7, v6
	v_subrev_u32_e32 v10, s24, v6
	v_cmp_le_u32_e32 vcc, s24, v6
	v_cndmask_b32_e32 v6, v6, v10, vcc
	v_cndmask_b32_e32 v4, v4, v9, vcc
	v_add_u32_e32 v9, 1, v4
	v_cmp_le_u32_e32 vcc, s24, v6
	v_cndmask_b32_e32 v96, v4, v9, vcc
.LBB0_6:                                ;   in Loop: Header=BB0_2 Depth=1
	s_or_b64 exec, exec, s[0:1]
	v_mul_lo_u32 v4, v97, s24
	v_mul_lo_u32 v6, v96, s25
	v_mad_u64_u32 v[9:10], s[0:1], v96, s24, 0
	s_load_dwordx2 s[0:1], s[6:7], 0x0
	s_load_dwordx2 s[24:25], s[2:3], 0x0
	v_add3_u32 v4, v10, v6, v4
	v_sub_co_u32_e32 v6, vcc, v7, v9
	v_subb_co_u32_e32 v4, vcc, v8, v4, vcc
	s_waitcnt lgkmcnt(0)
	v_mul_lo_u32 v7, s0, v4
	v_mul_lo_u32 v8, s1, v6
	v_mad_u64_u32 v[1:2], s[0:1], s0, v6, v[1:2]
	s_add_u32 s22, s22, 1
	s_addc_u32 s23, s23, 0
	s_add_u32 s2, s2, 8
	v_mul_lo_u32 v4, s24, v4
	v_mul_lo_u32 v9, s25, v6
	v_mad_u64_u32 v[92:93], s[0:1], s24, v6, v[92:93]
	v_add3_u32 v2, v8, v2, v7
	s_addc_u32 s3, s3, 0
	v_mov_b32_e32 v6, s14
	s_add_u32 s6, s6, 8
	v_mov_b32_e32 v7, s15
	s_addc_u32 s7, s7, 0
	v_cmp_ge_u64_e32 vcc, s[22:23], v[6:7]
	s_add_u32 s20, s20, 8
	v_add3_u32 v93, v9, v93, v4
	s_addc_u32 s21, s21, 0
	s_cbranch_vccnz .LBB0_8
; %bb.7:                                ;   in Loop: Header=BB0_2 Depth=1
	v_mov_b32_e32 v7, v96
	v_mov_b32_e32 v8, v97
	s_branch .LBB0_2
.LBB0_8:
	s_mov_b32 s0, 0xaaaaaaab
	s_load_dwordx2 s[4:5], s[4:5], 0x28
	v_mul_hi_u32 v4, v3, s0
	s_lshl_b64 s[6:7], s[14:15], 3
	s_add_u32 s2, s18, s6
	s_addc_u32 s3, s19, s7
	v_lshrrev_b32_e32 v4, 1, v4
	v_lshl_add_u32 v4, v4, 1, v4
	s_waitcnt lgkmcnt(0)
	v_cmp_gt_u64_e64 s[0:1], s[4:5], v[96:97]
	v_cmp_le_u64_e32 vcc, s[4:5], v[96:97]
	v_sub_u32_e32 v3, v3, v4
                                        ; implicit-def: $vgpr94
                                        ; implicit-def: $vgpr98
                                        ; implicit-def: $vgpr101
                                        ; implicit-def: $vgpr100
	s_and_saveexec_b64 s[4:5], vcc
	s_xor_b64 s[4:5], exec, s[4:5]
; %bb.9:
	s_mov_b32 s14, 0x3c3c3c4
	v_mul_hi_u32 v1, v0, s14
	v_mul_u32_u24_e32 v1, 0x44, v1
	v_sub_u32_e32 v94, v0, v1
	v_add_u32_e32 v98, 0x44, v94
	v_add_u32_e32 v101, 0x88, v94
	v_add_u32_e32 v100, 0xcc, v94
                                        ; implicit-def: $vgpr0
                                        ; implicit-def: $vgpr1_vgpr2
; %bb.10:
	s_or_saveexec_b64 s[4:5], s[4:5]
	v_mul_u32_u24_e32 v3, 0x375, v3
	v_lshlrev_b32_e32 v68, 4, v3
	s_xor_b64 exec, exec, s[4:5]
	s_cbranch_execz .LBB0_12
; %bb.11:
	s_add_u32 s6, s16, s6
	s_addc_u32 s7, s17, s7
	s_load_dwordx2 s[6:7], s[6:7], 0x0
	s_mov_b32 s14, 0x3c3c3c4
	v_mul_hi_u32 v5, v0, s14
	s_waitcnt lgkmcnt(0)
	v_mul_lo_u32 v6, s7, v96
	v_mul_lo_u32 v7, s6, v97
	v_mad_u64_u32 v[3:4], s[6:7], s6, v96, 0
	v_mul_u32_u24_e32 v5, 0x44, v5
	v_sub_u32_e32 v94, v0, v5
	v_add3_u32 v4, v4, v7, v6
	v_lshlrev_b64 v[3:4], 4, v[3:4]
	v_mov_b32_e32 v0, s9
	v_add_co_u32_e32 v3, vcc, s8, v3
	v_addc_co_u32_e32 v4, vcc, v0, v4, vcc
	v_lshlrev_b64 v[0:1], 4, v[1:2]
	v_lshlrev_b32_e32 v56, 4, v94
	v_add_co_u32_e32 v0, vcc, v3, v0
	v_addc_co_u32_e32 v1, vcc, v4, v1, vcc
	v_add_co_u32_e32 v40, vcc, v0, v56
	v_addc_co_u32_e32 v41, vcc, 0, v1, vcc
	s_movk_i32 s6, 0x1000
	v_add_co_u32_e32 v32, vcc, s6, v40
	v_addc_co_u32_e32 v33, vcc, 0, v41, vcc
	s_movk_i32 s6, 0x2000
	v_add_co_u32_e32 v52, vcc, s6, v40
	v_addc_co_u32_e32 v53, vcc, 0, v41, vcc
	v_add_co_u32_e32 v54, vcc, 0x3000, v40
	global_load_dwordx4 v[0:3], v[40:41], off
	global_load_dwordx4 v[4:7], v[40:41], off offset:1088
	global_load_dwordx4 v[8:11], v[40:41], off offset:2176
	global_load_dwordx4 v[12:15], v[40:41], off offset:3264
	global_load_dwordx4 v[16:19], v[32:33], off offset:256
	global_load_dwordx4 v[20:23], v[32:33], off offset:1344
	global_load_dwordx4 v[24:27], v[32:33], off offset:2432
	global_load_dwordx4 v[28:31], v[32:33], off offset:3520
	s_nop 0
	global_load_dwordx4 v[32:35], v[52:53], off offset:512
	global_load_dwordx4 v[36:39], v[52:53], off offset:1600
	v_addc_co_u32_e32 v55, vcc, 0, v41, vcc
	global_load_dwordx4 v[40:43], v[52:53], off offset:2688
	global_load_dwordx4 v[44:47], v[52:53], off offset:3776
	;; [unrolled: 1-line block ×3, first 2 shown]
	v_add_u32_e32 v98, 0x44, v94
	v_add_u32_e32 v101, 0x88, v94
	;; [unrolled: 1-line block ×3, first 2 shown]
	v_add3_u32 v52, 0, v68, v56
	s_waitcnt vmcnt(12)
	ds_write_b128 v52, v[0:3]
	s_waitcnt vmcnt(11)
	ds_write_b128 v52, v[4:7] offset:1088
	s_waitcnt vmcnt(10)
	ds_write_b128 v52, v[8:11] offset:2176
	;; [unrolled: 2-line block ×12, first 2 shown]
.LBB0_12:
	s_or_b64 exec, exec, s[4:5]
	v_add_u32_e32 v190, 0, v68
	v_lshlrev_b32_e32 v95, 4, v94
	v_add_u32_e32 v191, v190, v95
	s_load_dwordx2 s[2:3], s[2:3], 0x0
	s_waitcnt lgkmcnt(0)
	s_barrier
	v_add3_u32 v99, 0, v95, v68
	ds_read_b128 v[12:15], v191
	ds_read_b128 v[0:3], v99 offset:1088
	ds_read_b128 v[16:19], v99 offset:2176
	;; [unrolled: 1-line block ×5, first 2 shown]
	s_mov_b32 s34, 0x42a4c3d2
	s_waitcnt lgkmcnt(4)
	v_add_f64 v[4:5], v[12:13], v[0:1]
	v_add_f64 v[6:7], v[14:15], v[2:3]
	s_mov_b32 s30, 0x66966769
	s_mov_b32 s8, 0x2ef20147
	s_mov_b32 s24, 0x24c2f84
	s_mov_b32 s28, 0x4bc48dbf
	s_mov_b32 s23, 0xbfddbe06
	s_mov_b32 s22, 0x4267c47c
	s_waitcnt lgkmcnt(3)
	v_add_f64 v[4:5], v[4:5], v[16:17]
	v_add_f64 v[6:7], v[6:7], v[18:19]
	s_mov_b32 s35, 0xbfea55e2
	s_mov_b32 s31, 0xbfefc445
	s_mov_b32 s9, 0xbfedeba7
	s_mov_b32 s25, 0xbfe5384d
	s_mov_b32 s29, 0xbfcea1e5
	;; [unrolled: 9-line block ×4, first 2 shown]
	s_mov_b32 s37, 0x3fe5384d
	s_waitcnt lgkmcnt(0)
	v_add_f64 v[44:45], v[4:5], v[28:29]
	v_add_f64 v[46:47], v[6:7], v[30:31]
	ds_read_b128 v[4:7], v99 offset:6528
	ds_read_b128 v[8:11], v99 offset:7616
	;; [unrolled: 1-line block ×5, first 2 shown]
	s_mov_b32 s36, s24
	s_mov_b32 s19, 0x3fefc445
	s_waitcnt lgkmcnt(2)
	v_add_f64 v[56:57], v[2:3], -v[34:35]
	v_add_f64 v[58:59], v[0:1], -v[32:33]
	v_add_f64 v[60:61], v[0:1], v[32:33]
	v_add_f64 v[52:53], v[44:45], v[4:5]
	;; [unrolled: 1-line block ×4, first 2 shown]
	ds_read_b128 v[44:47], v99 offset:10880
	ds_read_b128 v[48:51], v99 offset:11968
	s_mov_b32 s18, s30
	v_mul_f64 v[64:65], v[56:57], s[34:35]
	v_mul_f64 v[66:67], v[58:59], s[34:35]
	;; [unrolled: 1-line block ×3, first 2 shown]
	v_add_f64 v[0:1], v[52:53], v[8:9]
	v_add_f64 v[2:3], v[54:55], v[10:11]
	v_mul_f64 v[52:53], v[56:57], s[22:23]
	v_mul_f64 v[54:55], v[58:59], s[22:23]
	;; [unrolled: 1-line block ×5, first 2 shown]
	s_waitcnt lgkmcnt(0)
	v_add_f64 v[108:109], v[18:19], -v[50:51]
	v_add_f64 v[0:1], v[0:1], v[36:37]
	v_add_f64 v[2:3], v[2:3], v[38:39]
	v_add_f64 v[110:111], v[16:17], -v[48:49]
	v_fma_f64 v[77:78], v[60:61], s[16:17], -v[52:53]
	v_fma_f64 v[79:80], v[62:63], s[16:17], v[54:55]
	v_fma_f64 v[52:53], v[60:61], s[16:17], v[52:53]
	v_fma_f64 v[54:55], v[62:63], s[16:17], -v[54:55]
	v_fma_f64 v[81:82], v[60:61], s[14:15], -v[64:65]
	v_add_f64 v[0:1], v[0:1], v[40:41]
	v_add_f64 v[2:3], v[2:3], v[42:43]
	v_fma_f64 v[83:84], v[62:63], s[14:15], v[66:67]
	v_fma_f64 v[64:65], v[60:61], s[14:15], v[64:65]
	v_fma_f64 v[66:67], v[62:63], s[14:15], -v[66:67]
	v_fma_f64 v[85:86], v[60:61], s[4:5], -v[69:70]
	v_fma_f64 v[87:88], v[62:63], s[4:5], v[71:72]
	v_fma_f64 v[69:70], v[60:61], s[4:5], v[69:70]
	v_add_f64 v[0:1], v[0:1], v[44:45]
	v_add_f64 v[2:3], v[2:3], v[46:47]
	v_fma_f64 v[71:72], v[62:63], s[4:5], -v[71:72]
	v_fma_f64 v[89:90], v[60:61], s[6:7], -v[73:74]
	v_fma_f64 v[102:103], v[62:63], s[6:7], v[75:76]
	v_fma_f64 v[73:74], v[60:61], s[6:7], v[73:74]
	v_fma_f64 v[75:76], v[62:63], s[6:7], -v[75:76]
	v_add_f64 v[16:17], v[16:17], v[48:49]
	v_add_f64 v[0:1], v[0:1], v[48:49]
	;; [unrolled: 1-line block ×4, first 2 shown]
	v_mul_f64 v[48:49], v[108:109], s[34:35]
	v_mul_f64 v[50:51], v[110:111], s[34:35]
	v_add_f64 v[77:78], v[12:13], v[77:78]
	v_add_f64 v[79:80], v[14:15], v[79:80]
	;; [unrolled: 1-line block ×5, first 2 shown]
	v_mul_f64 v[32:33], v[56:57], s[24:25]
	v_mul_f64 v[34:35], v[58:59], s[24:25]
	;; [unrolled: 1-line block ×4, first 2 shown]
	v_add_f64 v[54:55], v[14:15], v[54:55]
	v_add_f64 v[81:82], v[12:13], v[81:82]
	v_add_f64 v[83:84], v[14:15], v[83:84]
	v_add_f64 v[64:65], v[12:13], v[64:65]
	v_fma_f64 v[104:105], v[60:61], s[20:21], -v[32:33]
	v_fma_f64 v[106:107], v[62:63], s[20:21], v[34:35]
	v_fma_f64 v[32:33], v[60:61], s[20:21], v[32:33]
	v_fma_f64 v[34:35], v[62:63], s[20:21], -v[34:35]
	v_fma_f64 v[112:113], v[60:61], s[26:27], -v[56:57]
	v_fma_f64 v[114:115], v[62:63], s[26:27], v[58:59]
	v_fma_f64 v[56:57], v[60:61], s[26:27], v[56:57]
	v_fma_f64 v[58:59], v[62:63], s[26:27], -v[58:59]
	v_add_f64 v[66:67], v[14:15], v[66:67]
	v_add_f64 v[85:86], v[12:13], v[85:86]
	;; [unrolled: 1-line block ×13, first 2 shown]
	v_fma_f64 v[60:61], v[16:17], s[14:15], -v[48:49]
	v_fma_f64 v[62:63], v[18:19], s[14:15], v[50:51]
	v_add_f64 v[112:113], v[12:13], v[112:113]
	v_add_f64 v[114:115], v[14:15], v[114:115]
	;; [unrolled: 1-line block ×4, first 2 shown]
	v_mul_f64 v[56:57], v[108:109], s[8:9]
	v_mul_f64 v[58:59], v[110:111], s[8:9]
	v_add_f64 v[60:61], v[60:61], v[77:78]
	v_add_f64 v[62:63], v[62:63], v[79:80]
	v_mul_f64 v[77:78], v[108:109], s[28:29]
	v_mul_f64 v[79:80], v[110:111], s[28:29]
	v_fma_f64 v[48:49], v[16:17], s[14:15], v[48:49]
	v_fma_f64 v[50:51], v[18:19], s[14:15], -v[50:51]
	v_fma_f64 v[116:117], v[16:17], s[6:7], -v[56:57]
	v_fma_f64 v[118:119], v[18:19], s[6:7], v[58:59]
	v_fma_f64 v[56:57], v[16:17], s[6:7], v[56:57]
	v_fma_f64 v[58:59], v[18:19], s[6:7], -v[58:59]
	v_fma_f64 v[120:121], v[16:17], s[26:27], -v[77:78]
	v_fma_f64 v[122:123], v[18:19], s[26:27], v[79:80]
	v_add_f64 v[48:49], v[48:49], v[52:53]
	v_add_f64 v[50:51], v[50:51], v[54:55]
	;; [unrolled: 1-line block ×4, first 2 shown]
	v_mul_f64 v[81:82], v[108:109], s[36:37]
	v_mul_f64 v[83:84], v[110:111], s[36:37]
	v_add_f64 v[56:57], v[56:57], v[64:65]
	v_add_f64 v[58:59], v[58:59], v[66:67]
	;; [unrolled: 1-line block ×4, first 2 shown]
	v_mul_f64 v[85:86], v[108:109], s[18:19]
	v_fma_f64 v[77:78], v[16:17], s[26:27], v[77:78]
	v_fma_f64 v[79:80], v[18:19], s[26:27], -v[79:80]
	v_mul_f64 v[87:88], v[110:111], s[18:19]
	v_fma_f64 v[116:117], v[16:17], s[20:21], -v[81:82]
	v_fma_f64 v[118:119], v[18:19], s[20:21], v[83:84]
	v_fma_f64 v[83:84], v[18:19], s[20:21], -v[83:84]
	v_fma_f64 v[81:82], v[16:17], s[20:21], v[81:82]
	v_fma_f64 v[120:121], v[16:17], s[4:5], -v[85:86]
	v_add_f64 v[69:70], v[77:78], v[69:70]
	v_add_f64 v[71:72], v[79:80], v[71:72]
	v_fma_f64 v[77:78], v[18:19], s[4:5], v[87:88]
	v_add_f64 v[79:80], v[116:117], v[89:90]
	v_add_f64 v[89:90], v[118:119], v[102:103]
	;; [unrolled: 1-line block ×3, first 2 shown]
	v_add_f64 v[83:84], v[22:23], -v[46:47]
	v_add_f64 v[102:103], v[20:21], -v[44:45]
	s_mov_b32 s23, 0x3fddbe06
	v_add_f64 v[73:74], v[81:82], v[73:74]
	v_add_f64 v[81:82], v[120:121], v[104:105]
	;; [unrolled: 1-line block ×3, first 2 shown]
	v_mul_f64 v[104:105], v[108:109], s[22:23]
	v_mul_f64 v[106:107], v[110:111], s[22:23]
	v_add_f64 v[20:21], v[20:21], v[44:45]
	v_add_f64 v[22:23], v[22:23], v[46:47]
	v_mul_f64 v[44:45], v[83:84], s[30:31]
	v_mul_f64 v[46:47], v[102:103], s[30:31]
	v_fma_f64 v[85:86], v[16:17], s[4:5], v[85:86]
	v_fma_f64 v[87:88], v[18:19], s[4:5], -v[87:88]
	v_fma_f64 v[108:109], v[16:17], s[16:17], -v[104:105]
	v_fma_f64 v[110:111], v[18:19], s[16:17], v[106:107]
	v_fma_f64 v[16:17], v[16:17], s[16:17], v[104:105]
	v_fma_f64 v[18:19], v[18:19], s[16:17], -v[106:107]
	v_fma_f64 v[104:105], v[20:21], s[4:5], -v[44:45]
	v_fma_f64 v[106:107], v[22:23], s[4:5], v[46:47]
	s_mov_b32 s39, 0x3fedeba7
	s_mov_b32 s38, s8
	v_fma_f64 v[44:45], v[20:21], s[4:5], v[44:45]
	v_fma_f64 v[46:47], v[22:23], s[4:5], -v[46:47]
	v_add_f64 v[12:13], v[16:17], v[12:13]
	v_add_f64 v[14:15], v[18:19], v[14:15]
	;; [unrolled: 1-line block ×4, first 2 shown]
	v_mul_f64 v[60:61], v[83:84], s[28:29]
	v_mul_f64 v[62:63], v[102:103], s[28:29]
	;; [unrolled: 1-line block ×4, first 2 shown]
	v_add_f64 v[32:33], v[85:86], v[32:33]
	v_add_f64 v[34:35], v[87:88], v[34:35]
	;; [unrolled: 1-line block ×4, first 2 shown]
	v_fma_f64 v[108:109], v[20:21], s[26:27], -v[60:61]
	v_fma_f64 v[110:111], v[22:23], s[26:27], v[62:63]
	v_fma_f64 v[60:61], v[20:21], s[26:27], v[60:61]
	v_fma_f64 v[62:63], v[22:23], s[26:27], -v[62:63]
	v_add_f64 v[44:45], v[44:45], v[48:49]
	v_add_f64 v[46:47], v[46:47], v[50:51]
	v_fma_f64 v[48:49], v[20:21], s[6:7], -v[104:105]
	v_fma_f64 v[50:51], v[22:23], s[6:7], v[106:107]
	v_add_f64 v[52:53], v[108:109], v[52:53]
	v_add_f64 v[54:55], v[110:111], v[54:55]
	;; [unrolled: 1-line block ×4, first 2 shown]
	v_mul_f64 v[60:61], v[83:84], s[22:23]
	v_mul_f64 v[62:63], v[102:103], s[22:23]
	v_add_f64 v[48:49], v[48:49], v[64:65]
	v_add_f64 v[50:51], v[50:51], v[66:67]
	v_fma_f64 v[64:65], v[20:21], s[6:7], v[104:105]
	v_fma_f64 v[66:67], v[22:23], s[6:7], -v[106:107]
	v_mul_f64 v[104:105], v[83:84], s[34:35]
	v_mul_f64 v[106:107], v[102:103], s[34:35]
	v_fma_f64 v[108:109], v[20:21], s[16:17], -v[60:61]
	v_fma_f64 v[110:111], v[22:23], s[16:17], v[62:63]
	v_fma_f64 v[60:61], v[20:21], s[16:17], v[60:61]
	v_fma_f64 v[62:63], v[22:23], s[16:17], -v[62:63]
	v_add_f64 v[64:65], v[64:65], v[69:70]
	v_add_f64 v[66:67], v[66:67], v[71:72]
	v_fma_f64 v[69:70], v[20:21], s[14:15], -v[104:105]
	v_fma_f64 v[71:72], v[22:23], s[14:15], v[106:107]
	v_add_f64 v[79:80], v[108:109], v[79:80]
	v_add_f64 v[89:90], v[110:111], v[89:90]
	;; [unrolled: 1-line block ×4, first 2 shown]
	v_mul_f64 v[73:74], v[83:84], s[24:25]
	v_mul_f64 v[75:76], v[102:103], s[24:25]
	v_add_f64 v[69:70], v[69:70], v[81:82]
	v_add_f64 v[71:72], v[71:72], v[77:78]
	v_add_f64 v[77:78], v[26:27], -v[42:43]
	v_add_f64 v[81:82], v[24:25], -v[40:41]
	v_fma_f64 v[83:84], v[20:21], s[14:15], v[104:105]
	v_fma_f64 v[102:103], v[22:23], s[14:15], -v[106:107]
	v_fma_f64 v[104:105], v[20:21], s[20:21], -v[73:74]
	v_fma_f64 v[106:107], v[22:23], s[20:21], v[75:76]
	v_add_f64 v[24:25], v[24:25], v[40:41]
	v_add_f64 v[26:27], v[26:27], v[42:43]
	v_mul_f64 v[40:41], v[77:78], s[8:9]
	v_mul_f64 v[42:43], v[81:82], s[8:9]
	v_fma_f64 v[20:21], v[20:21], s[20:21], v[73:74]
	v_fma_f64 v[22:23], v[22:23], s[20:21], -v[75:76]
	v_add_f64 v[32:33], v[83:84], v[32:33]
	v_add_f64 v[73:74], v[104:105], v[85:86]
	;; [unrolled: 1-line block ×4, first 2 shown]
	v_fma_f64 v[83:84], v[24:25], s[6:7], -v[40:41]
	v_fma_f64 v[85:86], v[26:27], s[6:7], v[42:43]
	v_add_f64 v[12:13], v[20:21], v[12:13]
	v_add_f64 v[14:15], v[22:23], v[14:15]
	v_mul_f64 v[20:21], v[77:78], s[36:37]
	v_mul_f64 v[22:23], v[81:82], s[36:37]
	v_fma_f64 v[40:41], v[24:25], s[6:7], v[40:41]
	v_fma_f64 v[42:43], v[26:27], s[6:7], -v[42:43]
	v_add_f64 v[16:17], v[83:84], v[16:17]
	v_add_f64 v[18:19], v[85:86], v[18:19]
	v_mul_f64 v[83:84], v[77:78], s[22:23]
	v_mul_f64 v[85:86], v[81:82], s[22:23]
	v_fma_f64 v[87:88], v[24:25], s[20:21], -v[20:21]
	v_fma_f64 v[102:103], v[26:27], s[20:21], v[22:23]
	v_add_f64 v[40:41], v[40:41], v[44:45]
	v_add_f64 v[42:43], v[42:43], v[46:47]
	v_fma_f64 v[20:21], v[24:25], s[20:21], v[20:21]
	v_fma_f64 v[22:23], v[26:27], s[20:21], -v[22:23]
	v_fma_f64 v[44:45], v[24:25], s[16:17], -v[83:84]
	v_fma_f64 v[46:47], v[26:27], s[16:17], v[85:86]
	v_add_f64 v[87:88], v[87:88], v[52:53]
	v_add_f64 v[102:103], v[102:103], v[54:55]
	v_mul_f64 v[52:53], v[77:78], s[30:31]
	v_mul_f64 v[54:55], v[81:82], s[30:31]
	s_mov_b32 s37, 0x3fcea1e5
	s_mov_b32 s36, s28
	v_add_f64 v[104:105], v[20:21], v[56:57]
	v_add_f64 v[106:107], v[22:23], v[58:59]
	;; [unrolled: 1-line block ×4, first 2 shown]
	v_fma_f64 v[20:21], v[24:25], s[16:17], v[83:84]
	v_fma_f64 v[22:23], v[26:27], s[16:17], -v[85:86]
	v_fma_f64 v[44:45], v[24:25], s[4:5], -v[52:53]
	v_fma_f64 v[46:47], v[26:27], s[4:5], v[54:55]
	v_mul_f64 v[48:49], v[77:78], s[36:37]
	v_mul_f64 v[50:51], v[81:82], s[36:37]
	s_mov_b32 s31, 0x3fea55e2
	s_mov_b32 s30, s34
	v_fma_f64 v[52:53], v[24:25], s[4:5], v[52:53]
	v_fma_f64 v[54:55], v[26:27], s[4:5], -v[54:55]
	v_add_f64 v[83:84], v[20:21], v[64:65]
	v_add_f64 v[85:86], v[22:23], v[66:67]
	;; [unrolled: 1-line block ×4, first 2 shown]
	v_fma_f64 v[20:21], v[24:25], s[26:27], -v[48:49]
	v_fma_f64 v[22:23], v[26:27], s[26:27], v[50:51]
	v_mul_f64 v[44:45], v[77:78], s[30:31]
	v_mul_f64 v[46:47], v[81:82], s[30:31]
	v_add_f64 v[77:78], v[30:31], -v[38:39]
	v_add_f64 v[81:82], v[28:29], -v[36:37]
	v_add_f64 v[60:61], v[52:53], v[60:61]
	v_add_f64 v[62:63], v[54:55], v[62:63]
	;; [unrolled: 1-line block ×4, first 2 shown]
	v_fma_f64 v[20:21], v[24:25], s[26:27], v[48:49]
	v_fma_f64 v[22:23], v[26:27], s[26:27], -v[50:51]
	v_fma_f64 v[48:49], v[24:25], s[14:15], -v[44:45]
	v_fma_f64 v[50:51], v[26:27], s[14:15], v[46:47]
	v_add_f64 v[52:53], v[28:29], v[36:37]
	v_add_f64 v[54:55], v[30:31], v[38:39]
	v_mul_f64 v[28:29], v[77:78], s[24:25]
	v_mul_f64 v[30:31], v[81:82], s[24:25]
	v_fma_f64 v[24:25], v[24:25], s[14:15], v[44:45]
	v_fma_f64 v[26:27], v[26:27], s[14:15], -v[46:47]
	v_add_f64 v[64:65], v[20:21], v[32:33]
	v_add_f64 v[66:67], v[22:23], v[34:35]
	;; [unrolled: 1-line block ×4, first 2 shown]
	v_fma_f64 v[20:21], v[52:53], s[20:21], -v[28:29]
	v_fma_f64 v[22:23], v[54:55], s[20:21], v[30:31]
	v_add_f64 v[44:45], v[24:25], v[12:13]
	v_add_f64 v[46:47], v[26:27], v[14:15]
	v_mul_f64 v[12:13], v[77:78], s[18:19]
	v_mul_f64 v[14:15], v[81:82], s[18:19]
	v_fma_f64 v[24:25], v[52:53], s[20:21], v[28:29]
	v_fma_f64 v[26:27], v[54:55], s[20:21], -v[30:31]
	v_add_f64 v[48:49], v[20:21], v[16:17]
	v_add_f64 v[50:51], v[22:23], v[18:19]
	v_mul_f64 v[16:17], v[77:78], s[34:35]
	v_mul_f64 v[18:19], v[81:82], s[34:35]
	v_fma_f64 v[28:29], v[52:53], s[4:5], -v[12:13]
	v_fma_f64 v[30:31], v[54:55], s[4:5], v[14:15]
	v_fma_f64 v[12:13], v[52:53], s[4:5], v[12:13]
	v_fma_f64 v[14:15], v[54:55], s[4:5], -v[14:15]
	v_add_f64 v[20:21], v[24:25], v[40:41]
	v_add_f64 v[22:23], v[26:27], v[42:43]
	v_mul_f64 v[36:37], v[77:78], s[36:37]
	v_mul_f64 v[38:39], v[81:82], s[36:37]
	v_add_f64 v[40:41], v[28:29], v[87:88]
	v_add_f64 v[42:43], v[30:31], v[102:103]
	;; [unrolled: 1-line block ×4, first 2 shown]
	v_fma_f64 v[12:13], v[52:53], s[14:15], v[16:17]
	v_fma_f64 v[14:15], v[54:55], s[14:15], -v[18:19]
	v_mul_f64 v[73:74], v[77:78], s[22:23]
	v_mul_f64 v[75:76], v[81:82], s[22:23]
	v_fma_f64 v[24:25], v[52:53], s[14:15], -v[16:17]
	v_fma_f64 v[26:27], v[54:55], s[14:15], v[18:19]
	v_fma_f64 v[16:17], v[52:53], s[26:27], -v[36:37]
	v_fma_f64 v[18:19], v[54:55], s[26:27], v[38:39]
	v_fma_f64 v[87:88], v[52:53], s[26:27], v[36:37]
	v_fma_f64 v[102:103], v[54:55], s[26:27], -v[38:39]
	v_add_f64 v[36:37], v[12:13], v[83:84]
	v_add_f64 v[38:39], v[14:15], v[85:86]
	v_fma_f64 v[12:13], v[52:53], s[16:17], -v[73:74]
	v_fma_f64 v[14:15], v[54:55], s[16:17], v[75:76]
	v_add_f64 v[32:33], v[24:25], v[108:109]
	v_add_f64 v[34:35], v[26:27], v[110:111]
	;; [unrolled: 1-line block ×6, first 2 shown]
	v_fma_f64 v[73:74], v[52:53], s[16:17], v[73:74]
	v_fma_f64 v[75:76], v[54:55], s[16:17], -v[75:76]
	v_mul_f64 v[60:61], v[77:78], s[8:9]
	v_mul_f64 v[62:63], v[81:82], s[8:9]
	v_add_f64 v[12:13], v[12:13], v[69:70]
	v_add_f64 v[14:15], v[14:15], v[71:72]
	v_add_f64 v[69:70], v[6:7], -v[10:11]
	v_add_f64 v[71:72], v[4:5], -v[8:9]
	v_add_f64 v[64:65], v[73:74], v[64:65]
	v_add_f64 v[66:67], v[75:76], v[66:67]
	v_fma_f64 v[73:74], v[52:53], s[6:7], -v[60:61]
	v_fma_f64 v[75:76], v[54:55], s[6:7], v[62:63]
	v_add_f64 v[8:9], v[4:5], v[8:9]
	v_add_f64 v[4:5], v[6:7], v[10:11]
	v_mul_f64 v[6:7], v[69:70], s[28:29]
	v_mul_f64 v[10:11], v[71:72], s[28:29]
	v_fma_f64 v[52:53], v[52:53], s[6:7], v[60:61]
	v_fma_f64 v[54:55], v[54:55], s[6:7], -v[62:63]
	v_add_f64 v[56:57], v[73:74], v[56:57]
	v_add_f64 v[58:59], v[75:76], v[58:59]
	v_mul_f64 v[60:61], v[69:70], s[22:23]
	v_mul_f64 v[62:63], v[71:72], s[22:23]
	v_fma_f64 v[73:74], v[8:9], s[26:27], -v[6:7]
	v_fma_f64 v[75:76], v[4:5], s[26:27], v[10:11]
	v_fma_f64 v[6:7], v[8:9], s[26:27], v[6:7]
	v_fma_f64 v[10:11], v[4:5], s[26:27], -v[10:11]
	v_add_f64 v[52:53], v[52:53], v[44:45]
	v_add_f64 v[54:55], v[54:55], v[46:47]
	v_fma_f64 v[77:78], v[8:9], s[16:17], -v[60:61]
	v_fma_f64 v[79:80], v[4:5], s[16:17], v[62:63]
	v_add_f64 v[44:45], v[73:74], v[48:49]
	v_add_f64 v[46:47], v[75:76], v[50:51]
	v_mul_f64 v[48:49], v[69:70], s[24:25]
	v_mul_f64 v[50:51], v[71:72], s[24:25]
	v_add_f64 v[20:21], v[6:7], v[20:21]
	v_add_f64 v[22:23], v[10:11], v[22:23]
	v_fma_f64 v[6:7], v[8:9], s[16:17], v[60:61]
	v_fma_f64 v[10:11], v[4:5], s[16:17], -v[62:63]
	v_mul_f64 v[73:74], v[69:70], s[30:31]
	v_mul_f64 v[75:76], v[71:72], s[30:31]
	v_fma_f64 v[60:61], v[8:9], s[20:21], -v[48:49]
	v_fma_f64 v[62:63], v[4:5], s[20:21], v[50:51]
	v_fma_f64 v[48:49], v[8:9], s[20:21], v[48:49]
	v_fma_f64 v[50:51], v[4:5], s[20:21], -v[50:51]
	v_add_f64 v[28:29], v[6:7], v[28:29]
	v_add_f64 v[30:31], v[10:11], v[30:31]
	v_fma_f64 v[6:7], v[8:9], s[14:15], -v[73:74]
	v_fma_f64 v[10:11], v[4:5], s[14:15], v[75:76]
	v_add_f64 v[32:33], v[60:61], v[32:33]
	v_add_f64 v[34:35], v[62:63], v[34:35]
	v_add_f64 v[36:37], v[48:49], v[36:37]
	v_add_f64 v[38:39], v[50:51], v[38:39]
	v_fma_f64 v[48:49], v[8:9], s[14:15], v[73:74]
	v_fma_f64 v[50:51], v[4:5], s[14:15], -v[75:76]
	v_mul_f64 v[60:61], v[69:70], s[8:9]
	v_mul_f64 v[62:63], v[71:72], s[8:9]
	v_add_f64 v[24:25], v[6:7], v[24:25]
	v_add_f64 v[26:27], v[10:11], v[26:27]
	v_mul_f64 v[6:7], v[69:70], s[18:19]
	v_mul_f64 v[10:11], v[71:72], s[18:19]
	v_add_f64 v[16:17], v[48:49], v[16:17]
	v_add_f64 v[18:19], v[50:51], v[18:19]
	v_fma_f64 v[48:49], v[8:9], s[6:7], -v[60:61]
	v_fma_f64 v[50:51], v[4:5], s[6:7], v[62:63]
	v_fma_f64 v[60:61], v[8:9], s[6:7], v[60:61]
	v_fma_f64 v[62:63], v[4:5], s[6:7], -v[62:63]
	v_fma_f64 v[69:70], v[8:9], s[4:5], -v[6:7]
	v_fma_f64 v[71:72], v[4:5], s[4:5], v[10:11]
	v_fma_f64 v[73:74], v[8:9], s[4:5], v[6:7]
	v_fma_f64 v[75:76], v[4:5], s[4:5], -v[10:11]
	v_add_f64 v[40:41], v[77:78], v[40:41]
	v_add_f64 v[42:43], v[79:80], v[42:43]
	;; [unrolled: 1-line block ×6, first 2 shown]
	s_movk_i32 s4, 0xd0
	v_add_f64 v[8:9], v[60:61], v[64:65]
	v_add_f64 v[10:11], v[62:63], v[66:67]
	;; [unrolled: 1-line block ×4, first 2 shown]
	v_mad_u32_u24 v52, v94, s4, v190
	v_lshl_add_u32 v193, v98, 4, v190
	s_barrier
	ds_write_b128 v52, v[0:3]
	ds_write_b128 v52, v[44:47] offset:16
	ds_write_b128 v52, v[40:43] offset:32
	;; [unrolled: 1-line block ×12, first 2 shown]
	s_waitcnt lgkmcnt(0)
	s_barrier
	ds_read_b128 v[0:3], v191
	ds_read_b128 v[10:13], v99 offset:3536
	ds_read_b128 v[28:31], v99 offset:7072
	;; [unrolled: 1-line block ×3, first 2 shown]
	v_lshl_add_u32 v192, v101, 4, v190
	ds_read_b128 v[6:9], v193
	ds_read_b128 v[14:17], v192
	ds_read_b128 v[44:47], v99 offset:4624
	ds_read_b128 v[32:35], v99 offset:5712
	;; [unrolled: 1-line block ×6, first 2 shown]
	v_cmp_gt_u32_e32 vcc, 17, v94
                                        ; implicit-def: $vgpr58_vgpr59
                                        ; implicit-def: $vgpr62_vgpr63
                                        ; implicit-def: $vgpr66_vgpr67
	s_and_saveexec_b64 s[4:5], vcc
	s_cbranch_execz .LBB0_14
; %bb.13:
	v_lshlrev_b32_e32 v4, 4, v100
	v_add3_u32 v4, 0, v4, v68
	ds_read_b128 v[56:59], v99 offset:6800
	ds_read_b128 v[60:63], v99 offset:10336
	ds_read_b128 v[20:23], v4
	ds_read_b128 v[64:67], v99 offset:13872
.LBB0_14:
	s_or_b64 exec, exec, s[4:5]
	s_movk_i32 s6, 0x4f
	v_mul_lo_u16_sdwa v4, v94, s6 dst_sel:DWORD dst_unused:UNUSED_PAD src0_sel:BYTE_0 src1_sel:DWORD
	v_mul_lo_u16_sdwa v18, v98, s6 dst_sel:DWORD dst_unused:UNUSED_PAD src0_sel:BYTE_0 src1_sel:DWORD
	v_lshrrev_b16_e32 v69, 10, v4
	v_lshrrev_b16_e32 v71, 10, v18
	v_mul_lo_u16_e32 v4, 13, v69
	v_mul_lo_u16_e32 v18, 13, v71
	v_sub_u16_e32 v70, v94, v4
	v_mov_b32_e32 v4, 3
	v_sub_u16_e32 v72, v98, v18
	v_mul_u32_u24_sdwa v5, v70, v4 dst_sel:DWORD dst_unused:UNUSED_PAD src0_sel:BYTE_0 src1_sel:DWORD
	v_mul_u32_u24_sdwa v18, v72, v4 dst_sel:DWORD dst_unused:UNUSED_PAD src0_sel:BYTE_0 src1_sel:DWORD
	v_lshlrev_b32_e32 v5, 4, v5
	v_lshlrev_b32_e32 v18, 4, v18
	global_load_dwordx4 v[76:79], v5, s[12:13] offset:16
	global_load_dwordx4 v[80:83], v5, s[12:13]
	global_load_dwordx4 v[84:87], v18, s[12:13] offset:32
	global_load_dwordx4 v[88:91], v18, s[12:13] offset:16
	;; [unrolled: 1-line block ×3, first 2 shown]
	global_load_dwordx4 v[106:109], v18, s[12:13]
	v_mul_lo_u16_sdwa v5, v101, s6 dst_sel:DWORD dst_unused:UNUSED_PAD src0_sel:BYTE_0 src1_sel:DWORD
	v_lshrrev_b16_e32 v73, 10, v5
	v_mul_lo_u16_e32 v5, 13, v73
	s_movk_i32 s4, 0x4ec5
	v_sub_u16_e32 v74, v101, v5
	v_mul_u32_u24_sdwa v5, v100, s4 dst_sel:DWORD dst_unused:UNUSED_PAD src0_sel:WORD_0 src1_sel:DWORD
	v_lshrrev_b32_e32 v5, 18, v5
	v_mul_lo_u16_e32 v5, 13, v5
	v_mul_u32_u24_sdwa v4, v74, v4 dst_sel:DWORD dst_unused:UNUSED_PAD src0_sel:BYTE_0 src1_sel:DWORD
	v_sub_u16_e32 v75, v100, v5
	v_lshlrev_b32_e32 v4, 4, v4
	v_mul_u32_u24_e32 v5, 3, v75
	global_load_dwordx4 v[110:113], v4, s[12:13] offset:16
	global_load_dwordx4 v[114:117], v4, s[12:13]
	global_load_dwordx4 v[118:121], v4, s[12:13] offset:32
	v_lshlrev_b32_e32 v4, 4, v5
	global_load_dwordx4 v[122:125], v4, s[12:13]
	global_load_dwordx4 v[126:129], v4, s[12:13] offset:16
	global_load_dwordx4 v[130:133], v4, s[12:13] offset:32
	s_movk_i32 s7, 0x340
	s_waitcnt vmcnt(0) lgkmcnt(0)
	s_barrier
	v_mul_f64 v[140:141], v[50:51], v[86:87]
	v_mul_f64 v[138:139], v[26:27], v[90:91]
	;; [unrolled: 1-line block ×12, first 2 shown]
	v_fma_f64 v[4:5], v[10:11], v[80:81], -v[4:5]
	v_fma_f64 v[10:11], v[12:13], v[80:81], v[18:19]
	v_fma_f64 v[12:13], v[28:29], v[76:77], -v[82:83]
	v_mul_f64 v[144:145], v[38:39], v[112:113]
	v_mul_f64 v[142:143], v[34:35], v[116:117]
	;; [unrolled: 1-line block ×9, first 2 shown]
	v_fma_f64 v[18:19], v[30:31], v[76:77], v[78:79]
	v_fma_f64 v[28:29], v[52:53], v[102:103], -v[134:135]
	v_fma_f64 v[30:31], v[54:55], v[102:103], v[104:105]
	v_fma_f64 v[44:45], v[44:45], v[106:107], -v[136:137]
	v_fma_f64 v[46:47], v[46:47], v[106:107], v[108:109]
	v_fma_f64 v[26:27], v[26:27], v[88:89], v[90:91]
	v_fma_f64 v[48:49], v[48:49], v[84:85], -v[140:141]
	v_fma_f64 v[50:51], v[50:51], v[84:85], v[86:87]
	v_mul_f64 v[124:125], v[56:57], v[124:125]
	v_mul_f64 v[128:129], v[60:61], v[128:129]
	;; [unrolled: 1-line block ×3, first 2 shown]
	v_fma_f64 v[52:53], v[32:33], v[114:115], -v[142:143]
	v_fma_f64 v[54:55], v[34:35], v[114:115], v[116:117]
	v_fma_f64 v[32:33], v[36:37], v[110:111], -v[144:145]
	v_fma_f64 v[34:35], v[38:39], v[110:111], v[112:113]
	;; [unrolled: 2-line block ×3, first 2 shown]
	v_fma_f64 v[40:41], v[56:57], v[122:123], -v[148:149]
	v_fma_f64 v[56:57], v[60:61], v[126:127], -v[150:151]
	;; [unrolled: 1-line block ×3, first 2 shown]
	v_add_f64 v[64:65], v[0:1], -v[12:13]
	v_add_f64 v[18:19], v[2:3], -v[18:19]
	;; [unrolled: 1-line block ×7, first 2 shown]
	v_fma_f64 v[24:25], v[24:25], v[88:89], -v[138:139]
	v_fma_f64 v[42:43], v[58:59], v[122:123], v[124:125]
	v_fma_f64 v[58:59], v[62:63], v[126:127], v[128:129]
	;; [unrolled: 1-line block ×3, first 2 shown]
	v_add_f64 v[66:67], v[14:15], -v[32:33]
	v_add_f64 v[78:79], v[54:55], -v[38:39]
	v_fma_f64 v[2:3], v[2:3], 2.0, -v[18:19]
	v_fma_f64 v[10:11], v[10:11], 2.0, -v[28:29]
	v_fma_f64 v[38:39], v[8:9], 2.0, -v[26:27]
	v_fma_f64 v[8:9], v[44:45], 2.0, -v[30:31]
	v_fma_f64 v[44:45], v[46:47], 2.0, -v[48:49]
	v_add_f64 v[24:25], v[6:7], -v[24:25]
	v_add_f64 v[76:77], v[16:17], -v[34:35]
	;; [unrolled: 1-line block ×7, first 2 shown]
	v_fma_f64 v[0:1], v[0:1], 2.0, -v[64:65]
	v_fma_f64 v[36:37], v[4:5], 2.0, -v[12:13]
	;; [unrolled: 1-line block ×3, first 2 shown]
	v_add_f64 v[14:15], v[2:3], -v[10:11]
	v_add_f64 v[10:11], v[38:39], -v[44:45]
	;; [unrolled: 1-line block ×3, first 2 shown]
	v_fma_f64 v[28:29], v[6:7], 2.0, -v[24:25]
	v_add_f64 v[6:7], v[18:19], v[12:13]
	v_add_f64 v[34:35], v[26:27], v[30:31]
	v_add_f64 v[12:13], v[0:1], -v[36:37]
	v_fma_f64 v[84:85], v[16:17], 2.0, -v[76:77]
	v_fma_f64 v[36:37], v[52:53], 2.0, -v[50:51]
	;; [unrolled: 1-line block ×8, first 2 shown]
	v_add_f64 v[8:9], v[28:29], -v[8:9]
	v_add_f64 v[32:33], v[24:25], -v[48:49]
	v_add_f64 v[36:37], v[82:83], -v[36:37]
	v_add_f64 v[38:39], v[84:85], -v[38:39]
	v_add_f64 v[44:45], v[66:67], -v[78:79]
	v_add_f64 v[46:47], v[76:77], v[50:51]
	v_add_f64 v[48:49], v[52:53], -v[20:21]
	v_add_f64 v[50:51], v[54:55], -v[22:23]
	;; [unrolled: 1-line block ×3, first 2 shown]
	v_add_f64 v[62:63], v[58:59], v[80:81]
	v_fma_f64 v[0:1], v[0:1], 2.0, -v[12:13]
	v_fma_f64 v[2:3], v[2:3], 2.0, -v[14:15]
	;; [unrolled: 1-line block ×15, first 2 shown]
	v_mov_b32_e32 v65, 4
	v_mad_u32_u24 v64, v69, s7, 0
	v_lshlrev_b32_sdwa v66, v65, v70 dst_sel:DWORD dst_unused:UNUSED_PAD src0_sel:DWORD src1_sel:BYTE_0
	v_add3_u32 v64, v64, v66, v68
	ds_write_b128 v64, v[0:3]
	ds_write_b128 v64, v[16:19] offset:208
	ds_write_b128 v64, v[12:15] offset:416
	ds_write_b128 v64, v[4:7] offset:624
	v_mad_u32_u24 v64, v71, s7, 0
	v_lshlrev_b32_sdwa v66, v65, v72 dst_sel:DWORD dst_unused:UNUSED_PAD src0_sel:DWORD src1_sel:BYTE_0
	v_add3_u32 v64, v64, v66, v68
	ds_write_b128 v64, v[28:31]
	ds_write_b128 v64, v[40:43] offset:208
	ds_write_b128 v64, v[8:11] offset:416
	ds_write_b128 v64, v[32:35] offset:624
	;; [unrolled: 7-line block ×3, first 2 shown]
	s_and_saveexec_b64 s[4:5], vcc
	s_cbranch_execz .LBB0_16
; %bb.15:
	v_mul_lo_u16_sdwa v64, v100, s6 dst_sel:DWORD dst_unused:UNUSED_PAD src0_sel:BYTE_0 src1_sel:DWORD
	v_lshrrev_b16_e32 v64, 10, v64
	v_mad_u32_u24 v64, v64, s7, 0
	v_lshlrev_b32_e32 v65, 4, v75
	v_add3_u32 v64, v64, v65, v68
	ds_write_b128 v64, v[52:55]
	ds_write_b128 v64, v[56:59] offset:208
	ds_write_b128 v64, v[48:51] offset:416
	;; [unrolled: 1-line block ×3, first 2 shown]
.LBB0_16:
	s_or_b64 exec, exec, s[4:5]
	v_cmp_gt_u32_e32 vcc, 52, v94
	s_waitcnt lgkmcnt(0)
	s_barrier
	s_waitcnt lgkmcnt(0)
                                        ; implicit-def: $vgpr66_vgpr67
	s_and_saveexec_b64 s[4:5], vcc
	s_cbranch_execz .LBB0_18
; %bb.17:
	ds_read_b128 v[0:3], v191
	ds_read_b128 v[16:19], v99 offset:832
	ds_read_b128 v[12:15], v99 offset:1664
	;; [unrolled: 1-line block ×16, first 2 shown]
.LBB0_18:
	s_or_b64 exec, exec, s[4:5]
	s_waitcnt lgkmcnt(0)
	s_barrier
	s_and_saveexec_b64 s[4:5], vcc
	s_cbranch_execz .LBB0_20
; %bb.19:
	v_add_u32_e32 v68, 0xfffffcc0, v95
	v_cndmask_b32_e32 v68, v68, v95, vcc
	v_mov_b32_e32 v69, 0
	v_lshlrev_b64 v[68:69], 4, v[68:69]
	v_mov_b32_e32 v70, s13
	v_add_co_u32_e32 v122, vcc, s12, v68
	v_addc_co_u32_e32 v123, vcc, v70, v69, vcc
	global_load_dwordx4 v[68:71], v[122:123], off offset:736
	global_load_dwordx4 v[72:75], v[122:123], off offset:752
	;; [unrolled: 1-line block ×16, first 2 shown]
	s_mov_b32 s6, 0x7faef3
	s_mov_b32 s7, 0xbfef7484
	;; [unrolled: 1-line block ×48, first 2 shown]
	s_waitcnt vmcnt(15)
	v_mul_f64 v[122:123], v[20:21], v[70:71]
	v_mul_f64 v[170:171], v[22:23], v[70:71]
	s_waitcnt vmcnt(13)
	v_mul_f64 v[70:71], v[32:33], v[90:91]
	s_waitcnt vmcnt(12)
	v_mul_f64 v[150:151], v[36:37], v[86:87]
	v_mul_f64 v[160:161], v[38:39], v[86:87]
	s_waitcnt vmcnt(10)
	v_mul_f64 v[188:189], v[44:45], v[78:79]
	;; [unrolled: 3-line block ×4, first 2 shown]
	v_mul_f64 v[108:109], v[54:55], v[108:109]
	v_mul_f64 v[146:147], v[24:25], v[74:75]
	s_waitcnt vmcnt(3)
	v_mul_f64 v[162:163], v[16:17], v[130:131]
	s_waitcnt vmcnt(2)
	v_mul_f64 v[164:165], v[64:65], v[134:135]
	v_mul_f64 v[186:187], v[26:27], v[74:75]
	;; [unrolled: 1-line block ×7, first 2 shown]
	s_waitcnt vmcnt(1)
	v_mul_f64 v[166:167], v[12:13], v[140:141]
	s_waitcnt vmcnt(0)
	v_mul_f64 v[168:169], v[60:61], v[144:145]
	v_mul_f64 v[180:181], v[66:67], v[134:135]
	v_fma_f64 v[82:83], v[22:23], v[68:69], v[122:123]
	v_fma_f64 v[122:123], v[34:35], v[88:89], v[70:71]
	v_fma_f64 v[70:71], v[52:53], v[106:107], -v[108:109]
	v_fma_f64 v[176:177], v[18:19], v[128:129], v[162:163]
	v_fma_f64 v[52:53], v[66:67], v[132:133], v[164:165]
	v_mul_f64 v[116:117], v[58:59], v[116:117]
	v_mul_f64 v[156:157], v[4:5], v[120:121]
	;; [unrolled: 1-line block ×5, first 2 shown]
	v_fma_f64 v[90:91], v[32:33], v[88:89], -v[74:75]
	v_fma_f64 v[74:75], v[54:55], v[106:107], v[104:105]
	v_fma_f64 v[66:67], v[58:59], v[114:115], v[152:153]
	v_fma_f64 v[174:175], v[16:17], v[128:129], -v[130:131]
	v_fma_f64 v[162:163], v[14:15], v[138:139], v[166:167]
	v_fma_f64 v[58:59], v[62:63], v[142:143], v[168:169]
	v_fma_f64 v[54:55], v[64:65], v[132:133], -v[180:181]
	v_add_f64 v[184:185], v[176:177], v[52:53]
	v_mul_f64 v[148:149], v[28:29], v[112:113]
	v_mul_f64 v[120:121], v[6:7], v[120:121]
	;; [unrolled: 1-line block ×3, first 2 shown]
	v_fma_f64 v[62:63], v[56:57], v[114:115], -v[116:117]
	v_fma_f64 v[152:153], v[6:7], v[118:119], v[156:157]
	v_fma_f64 v[56:57], v[50:51], v[124:125], v[158:159]
	v_fma_f64 v[166:167], v[12:13], v[138:139], -v[178:179]
	v_fma_f64 v[50:51], v[60:61], v[142:143], -v[182:183]
	v_add_f64 v[168:169], v[162:163], v[58:59]
	v_add_f64 v[178:179], v[174:175], -v[54:55]
	v_mul_f64 v[6:7], v[184:185], s[6:7]
	v_mul_f64 v[112:113], v[30:31], v[112:113]
	v_fma_f64 v[144:145], v[30:31], v[110:111], v[148:149]
	v_fma_f64 v[158:159], v[4:5], v[118:119], -v[120:121]
	v_fma_f64 v[48:49], v[48:49], v[124:125], -v[126:127]
	v_add_f64 v[182:183], v[176:177], -v[52:53]
	v_add_f64 v[164:165], v[152:153], v[56:57]
	v_add_f64 v[130:131], v[166:167], -v[50:51]
	v_mul_f64 v[4:5], v[168:169], s[14:15]
	v_fma_f64 v[12:13], v[178:179], s[18:19], v[6:7]
	v_fma_f64 v[136:137], v[42:43], v[102:103], v[78:79]
	v_fma_f64 v[140:141], v[28:29], v[110:111], -v[112:113]
	v_add_f64 v[132:133], v[162:163], -v[58:59]
	v_add_f64 v[180:181], v[174:175], v[54:55]
	v_add_f64 v[112:113], v[158:159], -v[48:49]
	v_add_f64 v[156:157], v[144:145], v[66:67]
	v_mul_f64 v[14:15], v[182:183], s[20:21]
	v_mul_f64 v[16:17], v[164:165], s[8:9]
	v_fma_f64 v[18:19], v[130:131], s[22:23], v[4:5]
	v_add_f64 v[12:13], v[2:3], v[12:13]
	v_fma_f64 v[134:135], v[40:41], v[102:103], -v[86:87]
	v_add_f64 v[114:115], v[166:167], v[50:51]
	v_add_f64 v[126:127], v[152:153], -v[56:57]
	v_add_f64 v[86:87], v[140:141], -v[62:63]
	v_add_f64 v[148:149], v[136:137], v[74:75]
	v_mul_f64 v[22:23], v[132:133], s[24:25]
	v_mul_f64 v[28:29], v[156:157], s[30:31]
	v_fma_f64 v[30:31], v[180:181], s[6:7], v[14:15]
	v_fma_f64 v[32:33], v[112:113], s[16:17], v[16:17]
	v_add_f64 v[12:13], v[18:19], v[12:13]
	v_add_f64 v[104:105], v[158:159], v[48:49]
	v_add_f64 v[60:61], v[134:135], -v[70:71]
	v_mul_f64 v[18:19], v[126:127], s[26:27]
	v_mul_f64 v[34:35], v[148:149], s[28:29]
	v_fma_f64 v[40:41], v[114:115], s[14:15], v[22:23]
	v_fma_f64 v[42:43], v[86:87], s[34:35], v[28:29]
	v_add_f64 v[30:31], v[0:1], v[30:31]
	v_add_f64 v[12:13], v[32:33], v[12:13]
	v_fma_f64 v[154:155], v[10:11], v[80:81], v[154:155]
	v_fma_f64 v[78:79], v[46:47], v[76:77], v[188:189]
	v_add_f64 v[120:121], v[144:145], -v[66:67]
	v_fma_f64 v[110:111], v[38:39], v[84:85], v[150:151]
	v_fma_f64 v[10:11], v[104:105], s[8:9], v[18:19]
	;; [unrolled: 1-line block ×3, first 2 shown]
	v_add_f64 v[30:31], v[40:41], v[30:31]
	v_add_f64 v[12:13], v[42:43], v[12:13]
	v_fma_f64 v[116:117], v[36:37], v[84:85], -v[160:161]
	v_fma_f64 v[160:161], v[8:9], v[80:81], -v[172:173]
	v_add_f64 v[150:151], v[154:155], v[78:79]
	v_fma_f64 v[80:81], v[44:45], v[76:77], -v[194:195]
	v_add_f64 v[106:107], v[140:141], v[62:63]
	v_mul_f64 v[8:9], v[120:121], s[44:45]
	v_add_f64 v[124:125], v[136:137], -v[74:75]
	v_add_f64 v[10:11], v[10:11], v[30:31]
	v_add_f64 v[12:13], v[32:33], v[12:13]
	;; [unrolled: 1-line block ×3, first 2 shown]
	v_mul_f64 v[30:31], v[150:151], s[42:43]
	v_add_f64 v[84:85], v[160:161], -v[80:81]
	v_add_f64 v[118:119], v[134:135], v[70:71]
	v_fma_f64 v[32:33], v[106:107], s[30:31], v[8:9]
	v_mul_f64 v[36:37], v[124:125], s[38:39]
	v_add_f64 v[108:109], v[154:155], -v[78:79]
	v_fma_f64 v[146:147], v[26:27], v[72:73], v[146:147]
	v_fma_f64 v[6:7], v[178:179], s[20:21], v[6:7]
	v_fma_f64 v[14:15], v[180:181], s[6:7], -v[14:15]
	v_fma_f64 v[38:39], v[84:85], s[46:47], v[30:31]
	v_mul_f64 v[40:41], v[64:65], s[40:41]
	v_add_f64 v[76:77], v[90:91], -v[116:117]
	v_add_f64 v[10:11], v[32:33], v[10:11]
	v_fma_f64 v[32:33], v[118:119], s[28:29], v[36:37]
	v_add_f64 v[88:89], v[160:161], v[80:81]
	v_mul_f64 v[42:43], v[108:109], s[52:53]
	v_add_f64 v[102:103], v[122:123], -v[110:111]
	v_fma_f64 v[172:173], v[20:21], v[68:69], -v[170:171]
	v_fma_f64 v[170:171], v[24:25], v[72:73], -v[186:187]
	v_fma_f64 v[4:5], v[130:131], s[24:25], v[4:5]
	v_add_f64 v[6:7], v[2:3], v[6:7]
	v_add_f64 v[68:69], v[82:83], v[146:147]
	v_fma_f64 v[22:23], v[114:115], s[14:15], -v[22:23]
	v_add_f64 v[14:15], v[0:1], v[14:15]
	v_add_f64 v[12:13], v[38:39], v[12:13]
	v_fma_f64 v[26:27], v[76:77], s[56:57], v[40:41]
	v_add_f64 v[10:11], v[32:33], v[10:11]
	v_fma_f64 v[32:33], v[88:89], s[42:43], v[42:43]
	v_add_f64 v[128:129], v[90:91], v[116:117]
	v_mul_f64 v[38:39], v[102:103], s[48:49]
	v_add_f64 v[4:5], v[4:5], v[6:7]
	v_fma_f64 v[6:7], v[112:113], s[26:27], v[16:17]
	v_mul_f64 v[16:17], v[68:69], s[50:51]
	v_add_f64 v[72:73], v[172:173], -v[170:171]
	v_add_f64 v[142:143], v[82:83], -v[146:147]
	v_add_f64 v[14:15], v[22:23], v[14:15]
	v_fma_f64 v[18:19], v[104:105], s[8:9], -v[18:19]
	v_add_f64 v[12:13], v[26:27], v[12:13]
	v_add_f64 v[10:11], v[32:33], v[10:11]
	v_fma_f64 v[20:21], v[128:129], s[40:41], v[38:39]
	v_add_f64 v[4:5], v[6:7], v[4:5]
	v_fma_f64 v[6:7], v[86:87], s[44:45], v[28:29]
	v_fma_f64 v[24:25], v[72:73], s[54:55], v[16:17]
	v_add_f64 v[138:139], v[172:173], v[170:171]
	v_mul_f64 v[22:23], v[142:143], s[58:59]
	v_add_f64 v[14:15], v[18:19], v[14:15]
	v_fma_f64 v[8:9], v[106:107], s[30:31], -v[8:9]
	v_fma_f64 v[26:27], v[60:61], s[38:39], v[34:35]
	v_add_f64 v[10:11], v[20:21], v[10:11]
	v_add_f64 v[4:5], v[6:7], v[4:5]
	;; [unrolled: 1-line block ×3, first 2 shown]
	v_mul_f64 v[18:19], v[182:183], s[26:27]
	v_fma_f64 v[12:13], v[138:139], s[50:51], v[22:23]
	v_mul_f64 v[28:29], v[184:185], s[8:9]
	v_add_f64 v[8:9], v[8:9], v[14:15]
	v_fma_f64 v[14:15], v[118:119], s[28:29], -v[36:37]
	v_fma_f64 v[30:31], v[84:85], s[52:53], v[30:31]
	v_add_f64 v[20:21], v[26:27], v[4:5]
	v_mul_f64 v[26:27], v[168:169], s[42:43]
	v_mul_f64 v[36:37], v[126:127], s[54:55]
	v_add_f64 v[4:5], v[12:13], v[10:11]
	v_fma_f64 v[10:11], v[180:181], s[8:9], v[18:19]
	v_mul_f64 v[12:13], v[132:133], s[52:53]
	v_add_f64 v[8:9], v[14:15], v[8:9]
	v_fma_f64 v[14:15], v[88:89], s[42:43], -v[42:43]
	v_fma_f64 v[24:25], v[178:179], s[16:17], v[28:29]
	v_add_f64 v[20:21], v[30:31], v[20:21]
	v_fma_f64 v[40:41], v[76:77], s[48:49], v[40:41]
	v_fma_f64 v[32:33], v[130:131], s[46:47], v[26:27]
	v_add_f64 v[10:11], v[0:1], v[10:11]
	v_fma_f64 v[30:31], v[114:115], s[42:43], v[12:13]
	v_mul_f64 v[34:35], v[164:165], s[50:51]
	v_add_f64 v[8:9], v[14:15], v[8:9]
	v_fma_f64 v[14:15], v[128:129], s[40:41], -v[38:39]
	v_add_f64 v[24:25], v[2:3], v[24:25]
	v_add_f64 v[20:21], v[40:41], v[20:21]
	v_mul_f64 v[42:43], v[156:157], s[28:29]
	v_mul_f64 v[38:39], v[120:121], s[36:37]
	v_add_f64 v[10:11], v[30:31], v[10:11]
	v_fma_f64 v[30:31], v[104:105], s[50:51], v[36:37]
	v_mul_f64 v[44:45], v[148:149], s[14:15]
	v_add_f64 v[8:9], v[14:15], v[8:9]
	v_fma_f64 v[14:15], v[72:73], s[58:59], v[16:17]
	v_add_f64 v[24:25], v[32:33], v[24:25]
	v_fma_f64 v[32:33], v[112:113], s[58:59], v[34:35]
	v_mul_f64 v[40:41], v[124:125], s[22:23]
	v_fma_f64 v[26:27], v[130:131], s[52:53], v[26:27]
	v_add_f64 v[16:17], v[30:31], v[10:11]
	v_fma_f64 v[30:31], v[106:107], s[28:29], v[38:39]
	v_fma_f64 v[18:19], v[180:181], s[8:9], -v[18:19]
	v_add_f64 v[10:11], v[14:15], v[20:21]
	v_fma_f64 v[14:15], v[178:179], s[26:27], v[28:29]
	v_add_f64 v[24:25], v[32:33], v[24:25]
	v_fma_f64 v[32:33], v[86:87], s[38:39], v[42:43]
	v_mul_f64 v[46:47], v[150:151], s[6:7]
	v_fma_f64 v[22:23], v[138:139], s[50:51], -v[22:23]
	v_add_f64 v[16:17], v[30:31], v[16:17]
	v_fma_f64 v[20:21], v[118:119], s[14:15], v[40:41]
	v_mul_f64 v[28:29], v[108:109], s[20:21]
	v_add_f64 v[14:15], v[2:3], v[14:15]
	v_fma_f64 v[12:13], v[114:115], s[42:43], -v[12:13]
	v_add_f64 v[24:25], v[32:33], v[24:25]
	v_fma_f64 v[32:33], v[60:61], s[24:25], v[44:45]
	v_add_f64 v[18:19], v[0:1], v[18:19]
	v_fma_f64 v[30:31], v[84:85], s[18:19], v[46:47]
	;; [unrolled: 2-line block ×4, first 2 shown]
	v_mul_f64 v[186:187], v[102:103], s[44:45]
	v_add_f64 v[24:25], v[32:33], v[24:25]
	v_mul_f64 v[32:33], v[64:65], s[30:31]
	v_add_f64 v[8:9], v[22:23], v[8:9]
	v_add_f64 v[12:13], v[12:13], v[18:19]
	v_fma_f64 v[18:19], v[104:105], s[50:51], -v[36:37]
	v_fma_f64 v[22:23], v[86:87], s[36:37], v[42:43]
	v_add_f64 v[14:15], v[26:27], v[14:15]
	v_add_f64 v[16:17], v[20:21], v[16:17]
	;; [unrolled: 1-line block ×3, first 2 shown]
	v_fma_f64 v[30:31], v[76:77], s[34:35], v[32:33]
	v_fma_f64 v[20:21], v[128:129], s[30:31], v[186:187]
	v_mul_f64 v[34:35], v[68:69], s[40:41]
	v_add_f64 v[12:13], v[18:19], v[12:13]
	v_fma_f64 v[18:19], v[106:107], s[28:29], -v[38:39]
	v_add_f64 v[22:23], v[22:23], v[14:15]
	v_fma_f64 v[36:37], v[60:61], s[22:23], v[44:45]
	v_mul_f64 v[38:39], v[182:183], s[38:39]
	v_add_f64 v[24:25], v[30:31], v[24:25]
	v_add_f64 v[16:17], v[20:21], v[16:17]
	v_fma_f64 v[20:21], v[72:73], s[56:57], v[34:35]
	v_mul_f64 v[30:31], v[184:185], s[28:29]
	v_add_f64 v[12:13], v[18:19], v[12:13]
	v_fma_f64 v[18:19], v[118:119], s[14:15], -v[40:41]
	v_add_f64 v[22:23], v[36:37], v[22:23]
	v_fma_f64 v[36:37], v[180:181], s[28:29], v[38:39]
	v_mul_f64 v[40:41], v[132:133], s[56:57]
	v_mul_f64 v[26:27], v[142:143], s[48:49]
	v_add_f64 v[14:15], v[20:21], v[24:25]
	v_fma_f64 v[24:25], v[178:179], s[36:37], v[30:31]
	v_mul_f64 v[42:43], v[168:169], s[40:41]
	v_fma_f64 v[44:45], v[84:85], s[20:21], v[46:47]
	v_add_f64 v[12:13], v[18:19], v[12:13]
	v_fma_f64 v[18:19], v[88:89], s[6:7], -v[28:29]
	v_add_f64 v[28:29], v[0:1], v[36:37]
	v_fma_f64 v[36:37], v[114:115], s[40:41], v[40:41]
	v_mul_f64 v[194:195], v[126:127], s[22:23]
	v_fma_f64 v[20:21], v[138:139], s[40:41], v[26:27]
	v_add_f64 v[24:25], v[2:3], v[24:25]
	v_fma_f64 v[46:47], v[130:131], s[48:49], v[42:43]
	v_mul_f64 v[188:189], v[164:165], s[14:15]
	v_add_f64 v[22:23], v[44:45], v[22:23]
	v_fma_f64 v[32:33], v[76:77], s[44:45], v[32:33]
	v_add_f64 v[28:29], v[36:37], v[28:29]
	v_fma_f64 v[36:37], v[104:105], s[14:15], v[194:195]
	v_mul_f64 v[196:197], v[120:121], s[26:27]
	v_add_f64 v[18:19], v[18:19], v[12:13]
	v_add_f64 v[24:25], v[46:47], v[24:25]
	v_fma_f64 v[44:45], v[112:113], s[24:25], v[188:189]
	v_mul_f64 v[46:47], v[156:157], s[8:9]
	v_add_f64 v[12:13], v[20:21], v[16:17]
	v_add_f64 v[16:17], v[32:33], v[22:23]
	;; [unrolled: 1-line block ×3, first 2 shown]
	v_fma_f64 v[22:23], v[106:107], s[8:9], v[196:197]
	v_fma_f64 v[186:187], v[128:129], s[30:31], -v[186:187]
	v_mul_f64 v[198:199], v[148:149], s[50:51]
	v_add_f64 v[24:25], v[44:45], v[24:25]
	v_fma_f64 v[44:45], v[86:87], s[16:17], v[46:47]
	v_mul_f64 v[32:33], v[124:125], s[58:59]
	v_mul_f64 v[36:37], v[150:151], s[30:31]
	v_fma_f64 v[34:35], v[72:73], s[48:49], v[34:35]
	v_add_f64 v[20:21], v[22:23], v[20:21]
	v_fma_f64 v[22:23], v[178:179], s[38:39], v[30:31]
	v_add_f64 v[28:29], v[186:187], v[18:19]
	v_fma_f64 v[26:27], v[138:139], s[40:41], -v[26:27]
	v_add_f64 v[18:19], v[44:45], v[24:25]
	v_fma_f64 v[24:25], v[60:61], s[54:55], v[198:199]
	v_fma_f64 v[30:31], v[118:119], s[50:51], v[32:33]
	v_mul_f64 v[44:45], v[108:109], s[34:35]
	v_fma_f64 v[42:43], v[130:131], s[56:57], v[42:43]
	v_add_f64 v[22:23], v[2:3], v[22:23]
	v_fma_f64 v[186:187], v[84:85], s[44:45], v[36:37]
	v_fma_f64 v[38:39], v[180:181], s[28:29], -v[38:39]
	v_mul_f64 v[202:203], v[164:165], s[30:31]
	v_add_f64 v[24:25], v[24:25], v[18:19]
	v_add_f64 v[18:19], v[34:35], v[16:17]
	v_mul_f64 v[34:35], v[64:65], s[6:7]
	v_add_f64 v[20:21], v[30:31], v[20:21]
	v_fma_f64 v[30:31], v[88:89], s[30:31], v[44:45]
	v_add_f64 v[16:17], v[26:27], v[28:29]
	v_add_f64 v[22:23], v[42:43], v[22:23]
	v_fma_f64 v[26:27], v[112:113], s[22:23], v[188:189]
	v_add_f64 v[24:25], v[186:187], v[24:25]
	v_add_f64 v[38:39], v[0:1], v[38:39]
	v_fma_f64 v[186:187], v[76:77], s[18:19], v[34:35]
	v_mul_f64 v[42:43], v[184:185], s[40:41]
	v_add_f64 v[20:21], v[30:31], v[20:21]
	v_fma_f64 v[30:31], v[114:115], s[40:41], -v[40:41]
	v_mul_f64 v[188:189], v[168:169], s[8:9]
	v_add_f64 v[22:23], v[26:27], v[22:23]
	v_fma_f64 v[26:27], v[86:87], s[26:27], v[46:47]
	v_mul_f64 v[204:205], v[132:133], s[16:17]
	v_add_f64 v[24:25], v[186:187], v[24:25]
	v_fma_f64 v[186:187], v[178:179], s[56:57], v[42:43]
	v_mul_f64 v[200:201], v[102:103], s[20:21]
	v_add_f64 v[30:31], v[30:31], v[38:39]
	v_fma_f64 v[38:39], v[104:105], s[14:15], -v[194:195]
	v_mul_f64 v[194:195], v[182:183], s[48:49]
	v_add_f64 v[22:23], v[26:27], v[22:23]
	v_fma_f64 v[26:27], v[60:61], s[58:59], v[198:199]
	v_mul_f64 v[40:41], v[68:69], s[42:43]
	v_add_f64 v[186:187], v[2:3], v[186:187]
	v_fma_f64 v[36:37], v[84:85], s[34:35], v[36:37]
	v_fma_f64 v[32:33], v[118:119], s[50:51], -v[32:33]
	v_add_f64 v[30:31], v[38:39], v[30:31]
	v_fma_f64 v[38:39], v[106:107], s[8:9], -v[196:197]
	v_fma_f64 v[196:197], v[130:131], s[26:27], v[188:189]
	v_add_f64 v[22:23], v[26:27], v[22:23]
	v_fma_f64 v[26:27], v[180:181], s[40:41], v[194:195]
	v_fma_f64 v[206:207], v[114:115], s[8:9], v[204:205]
	v_mul_f64 v[208:209], v[126:127], s[44:45]
	v_fma_f64 v[28:29], v[128:129], s[6:7], v[200:201]
	v_fma_f64 v[46:47], v[72:73], s[46:47], v[40:41]
	v_add_f64 v[30:31], v[38:39], v[30:31]
	v_add_f64 v[38:39], v[196:197], v[186:187]
	v_fma_f64 v[186:187], v[112:113], s[34:35], v[202:203]
	v_mul_f64 v[196:197], v[156:157], s[42:43]
	v_add_f64 v[26:27], v[0:1], v[26:27]
	v_add_f64 v[36:37], v[36:37], v[22:23]
	;; [unrolled: 1-line block ×3, first 2 shown]
	v_mul_f64 v[28:29], v[142:143], s[52:53]
	v_add_f64 v[22:23], v[32:33], v[30:31]
	v_fma_f64 v[30:31], v[88:89], s[30:31], -v[44:45]
	v_add_f64 v[32:33], v[186:187], v[38:39]
	v_fma_f64 v[38:39], v[86:87], s[52:53], v[196:197]
	v_mul_f64 v[44:45], v[148:149], s[6:7]
	v_add_f64 v[26:27], v[206:207], v[26:27]
	v_fma_f64 v[186:187], v[104:105], s[30:31], v[208:209]
	v_mul_f64 v[206:207], v[120:121], s[46:47]
	v_fma_f64 v[34:35], v[76:77], s[20:21], v[34:35]
	v_add_f64 v[30:31], v[30:31], v[22:23]
	v_mul_f64 v[210:211], v[150:151], s[50:51]
	v_add_f64 v[32:33], v[38:39], v[32:33]
	v_fma_f64 v[38:39], v[60:61], s[18:19], v[44:45]
	v_add_f64 v[22:23], v[46:47], v[24:25]
	v_add_f64 v[26:27], v[186:187], v[26:27]
	v_fma_f64 v[186:187], v[106:107], s[42:43], v[206:207]
	v_mul_f64 v[46:47], v[124:125], s[20:21]
	v_fma_f64 v[198:199], v[138:139], s[42:43], v[28:29]
	v_fma_f64 v[200:201], v[128:129], s[6:7], -v[200:201]
	v_add_f64 v[24:25], v[34:35], v[36:37]
	v_add_f64 v[32:33], v[38:39], v[32:33]
	v_fma_f64 v[34:35], v[84:85], s[54:55], v[210:211]
	v_fma_f64 v[36:37], v[178:179], s[48:49], v[42:43]
	v_add_f64 v[26:27], v[186:187], v[26:27]
	v_fma_f64 v[38:39], v[118:119], s[6:7], v[46:47]
	v_mul_f64 v[42:43], v[108:109], s[58:59]
	v_fma_f64 v[40:41], v[72:73], s[52:53], v[40:41]
	v_mul_f64 v[186:187], v[64:65], s[14:15]
	v_add_f64 v[20:21], v[198:199], v[20:21]
	v_add_f64 v[30:31], v[200:201], v[30:31]
	v_fma_f64 v[28:29], v[138:139], s[42:43], -v[28:29]
	v_add_f64 v[32:33], v[34:35], v[32:33]
	v_fma_f64 v[34:35], v[130:131], s[16:17], v[188:189]
	v_add_f64 v[36:37], v[2:3], v[36:37]
	v_add_f64 v[38:39], v[38:39], v[26:27]
	v_fma_f64 v[188:189], v[88:89], s[50:51], v[42:43]
	v_mul_f64 v[198:199], v[102:103], s[22:23]
	v_fma_f64 v[200:201], v[76:77], s[24:25], v[186:187]
	v_add_f64 v[26:27], v[40:41], v[24:25]
	v_mul_f64 v[40:41], v[68:69], s[28:29]
	v_add_f64 v[24:25], v[28:29], v[30:31]
	v_add_f64 v[28:29], v[34:35], v[36:37]
	v_fma_f64 v[30:31], v[112:113], s[44:45], v[202:203]
	v_add_f64 v[34:35], v[188:189], v[38:39]
	v_fma_f64 v[36:37], v[128:129], s[14:15], v[198:199]
	v_add_f64 v[32:33], v[200:201], v[32:33]
	v_fma_f64 v[38:39], v[180:181], s[40:41], -v[194:195]
	v_fma_f64 v[188:189], v[72:73], s[36:37], v[40:41]
	v_mul_f64 v[194:195], v[184:185], s[50:51]
	v_mul_f64 v[200:201], v[142:143], s[38:39]
	v_add_f64 v[28:29], v[30:31], v[28:29]
	v_fma_f64 v[196:197], v[86:87], s[46:47], v[196:197]
	v_add_f64 v[34:35], v[36:37], v[34:35]
	v_fma_f64 v[36:37], v[114:115], s[8:9], -v[204:205]
	v_add_f64 v[38:39], v[0:1], v[38:39]
	v_add_f64 v[30:31], v[188:189], v[32:33]
	v_fma_f64 v[32:33], v[178:179], s[58:59], v[194:195]
	v_mul_f64 v[188:189], v[168:169], s[6:7]
	v_fma_f64 v[202:203], v[138:139], s[28:29], v[200:201]
	v_mul_f64 v[204:205], v[182:183], s[54:55]
	v_add_f64 v[196:197], v[196:197], v[28:29]
	v_fma_f64 v[44:45], v[60:61], s[20:21], v[44:45]
	v_add_f64 v[36:37], v[36:37], v[38:39]
	v_fma_f64 v[38:39], v[104:105], s[30:31], -v[208:209]
	v_add_f64 v[32:33], v[2:3], v[32:33]
	v_fma_f64 v[208:209], v[130:131], s[18:19], v[188:189]
	v_mul_f64 v[212:213], v[164:165], s[40:41]
	v_add_f64 v[28:29], v[202:203], v[34:35]
	v_fma_f64 v[34:35], v[180:181], s[50:51], v[204:205]
	v_mul_f64 v[202:203], v[132:133], s[20:21]
	v_add_f64 v[44:45], v[44:45], v[196:197]
	v_add_f64 v[36:37], v[38:39], v[36:37]
	v_fma_f64 v[38:39], v[106:107], s[42:43], -v[206:207]
	v_add_f64 v[32:33], v[208:209], v[32:33]
	v_fma_f64 v[196:197], v[112:113], s[48:49], v[212:213]
	v_mul_f64 v[206:207], v[156:157], s[14:15]
	v_add_f64 v[34:35], v[0:1], v[34:35]
	v_fma_f64 v[208:209], v[114:115], s[6:7], v[202:203]
	v_mul_f64 v[214:215], v[126:127], s[56:57]
	v_fma_f64 v[210:211], v[84:85], s[58:59], v[210:211]
	v_add_f64 v[36:37], v[38:39], v[36:37]
	v_fma_f64 v[38:39], v[118:119], s[6:7], -v[46:47]
	v_add_f64 v[32:33], v[196:197], v[32:33]
	v_fma_f64 v[46:47], v[86:87], s[22:23], v[206:207]
	v_mul_f64 v[196:197], v[148:149], s[42:43]
	v_add_f64 v[34:35], v[208:209], v[34:35]
	v_fma_f64 v[208:209], v[104:105], s[40:41], v[214:215]
	v_mul_f64 v[216:217], v[120:121], s[24:25]
	v_add_f64 v[44:45], v[210:211], v[44:45]
	v_add_f64 v[36:37], v[38:39], v[36:37]
	v_fma_f64 v[38:39], v[88:89], s[50:51], -v[42:43]
	v_add_f64 v[32:33], v[46:47], v[32:33]
	v_fma_f64 v[42:43], v[60:61], s[52:53], v[196:197]
	v_mul_f64 v[46:47], v[150:151], s[8:9]
	v_add_f64 v[34:35], v[208:209], v[34:35]
	v_fma_f64 v[208:209], v[106:107], s[14:15], v[216:217]
	v_mul_f64 v[210:211], v[124:125], s[46:47]
	v_fma_f64 v[186:187], v[76:77], s[22:23], v[186:187]
	v_add_f64 v[36:37], v[38:39], v[36:37]
	v_fma_f64 v[38:39], v[128:129], s[14:15], -v[198:199]
	v_add_f64 v[32:33], v[42:43], v[32:33]
	v_fma_f64 v[42:43], v[84:85], s[16:17], v[46:47]
	v_mul_f64 v[218:219], v[108:109], s[26:27]
	v_add_f64 v[34:35], v[208:209], v[34:35]
	v_fma_f64 v[208:209], v[118:119], s[42:43], v[210:211]
	v_mul_f64 v[198:199], v[64:65], s[28:29]
	v_add_f64 v[44:45], v[186:187], v[44:45]
	v_add_f64 v[36:37], v[38:39], v[36:37]
	v_fma_f64 v[38:39], v[72:73], s[38:39], v[40:41]
	v_add_f64 v[32:33], v[42:43], v[32:33]
	v_fma_f64 v[42:43], v[178:179], s[54:55], v[194:195]
	v_fma_f64 v[194:195], v[88:89], s[8:9], v[218:219]
	v_add_f64 v[186:187], v[208:209], v[34:35]
	v_mul_f64 v[208:209], v[102:103], s[36:37]
	v_fma_f64 v[40:41], v[76:77], s[38:39], v[198:199]
	v_mul_f64 v[220:221], v[68:69], s[30:31]
	v_fma_f64 v[200:201], v[138:139], s[28:29], -v[200:201]
	v_add_f64 v[34:35], v[38:39], v[44:45]
	v_fma_f64 v[38:39], v[130:131], s[20:21], v[188:189]
	v_add_f64 v[42:43], v[2:3], v[42:43]
	v_add_f64 v[44:45], v[194:195], v[186:187]
	v_fma_f64 v[186:187], v[128:129], s[28:29], v[208:209]
	v_add_f64 v[40:41], v[40:41], v[32:33]
	v_fma_f64 v[188:189], v[72:73], s[34:35], v[220:221]
	v_add_f64 v[32:33], v[200:201], v[36:37]
	v_mul_f64 v[200:201], v[184:185], s[42:43]
	v_mul_f64 v[222:223], v[132:133], s[38:39]
	v_add_f64 v[36:37], v[38:39], v[42:43]
	v_fma_f64 v[42:43], v[112:113], s[56:57], v[212:213]
	v_mul_f64 v[212:213], v[182:183], s[46:47]
	v_add_f64 v[44:45], v[186:187], v[44:45]
	v_fma_f64 v[186:187], v[180:181], s[50:51], -v[204:205]
	v_add_f64 v[38:39], v[188:189], v[40:41]
	v_fma_f64 v[188:189], v[178:179], s[52:53], v[200:201]
	v_mul_f64 v[204:205], v[168:169], s[28:29]
	v_fma_f64 v[202:203], v[114:115], s[6:7], -v[202:203]
	v_add_f64 v[36:37], v[42:43], v[36:37]
	v_fma_f64 v[42:43], v[180:181], s[42:43], v[212:213]
	v_fma_f64 v[206:207], v[86:87], s[24:25], v[206:207]
	v_add_f64 v[186:187], v[0:1], v[186:187]
	v_mul_f64 v[226:227], v[164:165], s[6:7]
	v_add_f64 v[188:189], v[2:3], v[188:189]
	v_fma_f64 v[224:225], v[130:131], s[36:37], v[204:205]
	v_fma_f64 v[228:229], v[114:115], s[28:29], v[222:223]
	v_mul_f64 v[230:231], v[126:127], s[18:19]
	v_add_f64 v[42:43], v[0:1], v[42:43]
	v_add_f64 v[36:37], v[206:207], v[36:37]
	;; [unrolled: 1-line block ×3, first 2 shown]
	v_fma_f64 v[202:203], v[104:105], s[40:41], -v[214:215]
	v_fma_f64 v[206:207], v[112:113], s[20:21], v[226:227]
	v_add_f64 v[188:189], v[224:225], v[188:189]
	v_mul_f64 v[214:215], v[156:157], s[40:41]
	v_fma_f64 v[224:225], v[104:105], s[6:7], v[230:231]
	v_add_f64 v[42:43], v[228:229], v[42:43]
	v_mul_f64 v[228:229], v[120:121], s[56:57]
	v_fma_f64 v[196:197], v[60:61], s[46:47], v[196:197]
	v_add_f64 v[186:187], v[202:203], v[186:187]
	v_fma_f64 v[202:203], v[106:107], s[14:15], -v[216:217]
	v_add_f64 v[188:189], v[206:207], v[188:189]
	v_fma_f64 v[206:207], v[86:87], s[48:49], v[214:215]
	v_mul_f64 v[216:217], v[148:149], s[30:31]
	v_add_f64 v[42:43], v[224:225], v[42:43]
	v_fma_f64 v[224:225], v[106:107], s[40:41], v[228:229]
	v_mul_f64 v[232:233], v[124:125], s[44:45]
	v_add_f64 v[36:37], v[196:197], v[36:37]
	v_add_f64 v[186:187], v[202:203], v[186:187]
	v_fma_f64 v[196:197], v[118:119], s[42:43], -v[210:211]
	v_add_f64 v[188:189], v[206:207], v[188:189]
	v_fma_f64 v[202:203], v[60:61], s[34:35], v[216:217]
	v_mul_f64 v[206:207], v[150:151], s[14:15]
	v_add_f64 v[42:43], v[224:225], v[42:43]
	v_fma_f64 v[210:211], v[118:119], s[30:31], v[232:233]
	v_mul_f64 v[224:225], v[108:109], s[22:23]
	v_fma_f64 v[46:47], v[84:85], s[26:27], v[46:47]
	v_add_f64 v[186:187], v[196:197], v[186:187]
	v_fma_f64 v[196:197], v[88:89], s[8:9], -v[218:219]
	v_mul_f64 v[194:195], v[142:143], s[44:45]
	v_add_f64 v[188:189], v[202:203], v[188:189]
	v_fma_f64 v[202:203], v[84:85], s[24:25], v[206:207]
	v_mul_f64 v[218:219], v[64:65], s[50:51]
	v_add_f64 v[42:43], v[210:211], v[42:43]
	v_fma_f64 v[210:211], v[88:89], s[14:15], v[224:225]
	v_add_f64 v[36:37], v[46:47], v[36:37]
	v_mul_f64 v[234:235], v[102:103], s[54:55]
	v_fma_f64 v[46:47], v[76:77], s[36:37], v[198:199]
	v_add_f64 v[196:197], v[196:197], v[186:187]
	v_fma_f64 v[198:199], v[128:129], s[28:29], -v[208:209]
	v_fma_f64 v[40:41], v[138:139], s[30:31], v[194:195]
	v_add_f64 v[202:203], v[202:203], v[188:189]
	v_fma_f64 v[208:209], v[76:77], s[58:59], v[218:219]
	v_add_f64 v[42:43], v[210:211], v[42:43]
	v_mul_f64 v[188:189], v[68:69], s[8:9]
	v_fma_f64 v[210:211], v[128:129], s[50:51], v[234:235]
	v_mul_f64 v[186:187], v[142:143], s[26:27]
	v_add_f64 v[196:197], v[198:199], v[196:197]
	v_fma_f64 v[194:195], v[138:139], s[30:31], -v[194:195]
	v_add_f64 v[46:47], v[46:47], v[36:37]
	v_fma_f64 v[198:199], v[72:73], s[44:45], v[220:221]
	v_add_f64 v[202:203], v[208:209], v[202:203]
	v_fma_f64 v[208:209], v[72:73], s[16:17], v[188:189]
	;; [unrolled: 2-line block ×3, first 2 shown]
	v_mul_f64 v[236:237], v[184:185], s[30:31]
	v_add_f64 v[36:37], v[40:41], v[44:45]
	v_add_f64 v[40:41], v[194:195], v[196:197]
	v_mul_f64 v[184:185], v[184:185], s[14:15]
	v_mul_f64 v[196:197], v[182:183], s[34:35]
	;; [unrolled: 1-line block ×3, first 2 shown]
	v_add_f64 v[42:43], v[198:199], v[46:47]
	v_fma_f64 v[198:199], v[178:179], s[46:47], v[200:201]
	v_add_f64 v[46:47], v[208:209], v[202:203]
	v_add_f64 v[44:45], v[220:221], v[210:211]
	v_fma_f64 v[194:195], v[178:179], s[44:45], v[236:237]
	v_fma_f64 v[200:201], v[130:131], s[38:39], v[204:205]
	;; [unrolled: 1-line block ×4, first 2 shown]
	v_fma_f64 v[208:209], v[180:181], s[42:43], -v[212:213]
	v_fma_f64 v[178:179], v[178:179], s[22:23], v[184:185]
	v_fma_f64 v[184:185], v[180:181], s[30:31], v[196:197]
	v_fma_f64 v[196:197], v[180:181], s[30:31], -v[196:197]
	v_fma_f64 v[210:211], v[180:181], s[14:15], v[182:183]
	v_fma_f64 v[180:181], v[180:181], s[14:15], -v[182:183]
	v_add_f64 v[198:199], v[2:3], v[198:199]
	v_add_f64 v[194:195], v[2:3], v[194:195]
	;; [unrolled: 1-line block ×13, first 2 shown]
	v_fma_f64 v[200:201], v[112:113], s[18:19], v[226:227]
	v_fma_f64 v[216:217], v[60:61], s[44:45], v[216:217]
	v_mul_f64 v[208:209], v[168:169], s[50:51]
	v_fma_f64 v[206:207], v[84:85], s[22:23], v[206:207]
	v_mul_f64 v[220:221], v[164:165], s[28:29]
	v_add_f64 v[2:3], v[2:3], v[162:163]
	v_add_f64 v[0:1], v[0:1], v[166:167]
	v_fma_f64 v[218:219], v[76:77], s[54:55], v[218:219]
	v_add_f64 v[198:199], v[200:201], v[198:199]
	v_fma_f64 v[200:201], v[86:87], s[56:57], v[214:215]
	v_fma_f64 v[214:215], v[130:131], s[58:59], v[208:209]
	v_fma_f64 v[208:209], v[130:131], s[54:55], v[208:209]
	v_fma_f64 v[212:213], v[114:115], s[28:29], -v[222:223]
	v_add_f64 v[2:3], v[2:3], v[152:153]
	v_add_f64 v[0:1], v[0:1], v[158:159]
	v_mul_f64 v[222:223], v[156:157], s[6:7]
	v_mul_f64 v[168:169], v[168:169], s[30:31]
	v_add_f64 v[198:199], v[200:201], v[198:199]
	v_mul_f64 v[200:201], v[132:133], s[54:55]
	v_mul_f64 v[226:227], v[126:127], s[38:39]
	v_add_f64 v[182:183], v[212:213], v[182:183]
	v_add_f64 v[2:3], v[2:3], v[144:145]
	;; [unrolled: 1-line block ×3, first 2 shown]
	v_fma_f64 v[212:213], v[104:105], s[6:7], -v[230:231]
	v_fma_f64 v[166:167], v[86:87], s[20:21], v[222:223]
	v_add_f64 v[198:199], v[216:217], v[198:199]
	v_fma_f64 v[176:177], v[114:115], s[50:51], v[200:201]
	v_mul_f64 v[164:165], v[164:165], s[42:43]
	v_add_f64 v[194:195], v[214:215], v[194:195]
	v_add_f64 v[2:3], v[2:3], v[136:137]
	v_add_f64 v[0:1], v[0:1], v[134:135]
	v_fma_f64 v[214:215], v[112:113], s[36:37], v[220:221]
	v_add_f64 v[182:183], v[212:213], v[182:183]
	v_add_f64 v[198:199], v[206:207], v[198:199]
	v_fma_f64 v[212:213], v[106:107], s[40:41], -v[228:229]
	v_add_f64 v[176:177], v[176:177], v[184:185]
	v_fma_f64 v[184:185], v[104:105], s[28:29], v[226:227]
	v_add_f64 v[2:3], v[2:3], v[154:155]
	v_add_f64 v[0:1], v[0:1], v[160:161]
	v_mul_f64 v[228:229], v[120:121], s[20:21]
	v_mul_f64 v[144:145], v[156:157], s[50:51]
	v_add_f64 v[174:175], v[218:219], v[198:199]
	v_fma_f64 v[198:199], v[114:115], s[50:51], -v[200:201]
	v_add_f64 v[200:201], v[208:209], v[202:203]
	v_fma_f64 v[202:203], v[112:113], s[38:39], v[220:221]
	v_add_f64 v[2:3], v[2:3], v[122:123]
	v_add_f64 v[0:1], v[0:1], v[90:91]
	v_mul_f64 v[122:123], v[132:133], s[34:35]
	v_mul_f64 v[126:127], v[126:127], s[46:47]
	v_fma_f64 v[162:163], v[104:105], s[28:29], -v[226:227]
	v_add_f64 v[196:197], v[198:199], v[196:197]
	v_add_f64 v[194:195], v[214:215], v[194:195]
	;; [unrolled: 1-line block ×5, first 2 shown]
	v_fma_f64 v[202:203], v[130:131], s[44:45], v[168:169]
	v_fma_f64 v[130:131], v[130:131], s[34:35], v[168:169]
	v_fma_f64 v[82:83], v[114:115], s[30:31], -v[122:123]
	v_fma_f64 v[114:115], v[114:115], s[30:31], v[122:123]
	v_fma_f64 v[214:215], v[86:87], s[18:19], v[222:223]
	v_add_f64 v[158:159], v[166:167], v[198:199]
	v_add_f64 v[2:3], v[2:3], v[146:147]
	;; [unrolled: 1-line block ×3, first 2 shown]
	v_fma_f64 v[198:199], v[112:113], s[52:53], v[164:165]
	v_fma_f64 v[112:113], v[112:113], s[46:47], v[164:165]
	v_add_f64 v[122:123], v[130:131], v[178:179]
	v_mul_f64 v[216:217], v[148:149], s[8:9]
	v_add_f64 v[182:183], v[212:213], v[182:183]
	v_fma_f64 v[212:213], v[118:119], s[30:31], -v[232:233]
	v_add_f64 v[2:3], v[2:3], v[110:111]
	v_add_f64 v[0:1], v[0:1], v[116:117]
	;; [unrolled: 1-line block ×3, first 2 shown]
	v_fma_f64 v[184:185], v[106:107], s[6:7], v[228:229]
	v_mul_f64 v[232:233], v[124:125], s[16:17]
	v_fma_f64 v[136:137], v[86:87], s[58:59], v[144:145]
	v_mul_f64 v[148:149], v[148:149], s[40:41]
	v_add_f64 v[82:83], v[82:83], v[180:181]
	v_fma_f64 v[130:131], v[104:105], s[42:43], -v[126:127]
	v_mul_f64 v[120:121], v[120:121], s[54:55]
	v_fma_f64 v[86:87], v[86:87], s[54:55], v[144:145]
	v_add_f64 v[110:111], v[112:113], v[122:123]
	v_add_f64 v[152:153], v[162:163], v[196:197]
	v_fma_f64 v[162:163], v[106:107], s[6:7], -v[228:229]
	v_add_f64 v[196:197], v[202:203], v[204:205]
	v_fma_f64 v[104:105], v[104:105], s[42:43], v[126:127]
	v_add_f64 v[114:115], v[114:115], v[210:211]
	v_add_f64 v[2:3], v[2:3], v[78:79]
	;; [unrolled: 1-line block ×4, first 2 shown]
	v_fma_f64 v[214:215], v[60:61], s[26:27], v[216:217]
	v_fma_f64 v[206:207], v[88:89], s[14:15], -v[224:225]
	v_add_f64 v[176:177], v[184:185], v[176:177]
	v_fma_f64 v[184:185], v[118:119], s[8:9], v[232:233]
	v_mul_f64 v[224:225], v[108:109], s[56:57]
	v_fma_f64 v[166:167], v[60:61], s[16:17], v[216:217]
	v_fma_f64 v[154:155], v[60:61], s[56:57], v[148:149]
	v_add_f64 v[82:83], v[130:131], v[82:83]
	v_fma_f64 v[112:113], v[106:107], s[50:51], -v[120:121]
	v_mul_f64 v[116:117], v[124:125], s[48:49]
	v_fma_f64 v[60:61], v[60:61], s[48:49], v[148:149]
	v_add_f64 v[78:79], v[86:87], v[110:111]
	v_add_f64 v[152:153], v[162:163], v[152:153]
	v_add_f64 v[162:163], v[198:199], v[196:197]
	v_fma_f64 v[106:107], v[106:107], s[50:51], v[120:121]
	v_add_f64 v[104:105], v[104:105], v[114:115]
	v_add_f64 v[2:3], v[2:3], v[74:75]
	;; [unrolled: 1-line block ×3, first 2 shown]
	v_mul_f64 v[230:231], v[150:151], s[40:41]
	v_add_f64 v[176:177], v[184:185], v[176:177]
	v_fma_f64 v[184:185], v[88:89], s[40:41], v[224:225]
	v_mul_f64 v[150:151], v[150:151], s[28:29]
	v_add_f64 v[80:81], v[112:113], v[82:83]
	v_fma_f64 v[82:83], v[118:119], s[40:41], -v[116:117]
	v_add_f64 v[78:79], v[60:61], v[78:79]
	v_mul_f64 v[60:61], v[108:109], s[38:39]
	v_fma_f64 v[140:141], v[118:119], s[8:9], -v[232:233]
	v_add_f64 v[136:137], v[136:137], v[162:163]
	v_fma_f64 v[86:87], v[118:119], s[40:41], v[116:117]
	v_add_f64 v[104:105], v[106:107], v[104:105]
	v_add_f64 v[66:67], v[2:3], v[66:67]
	;; [unrolled: 1-line block ×4, first 2 shown]
	v_mul_f64 v[214:215], v[64:65], s[42:43]
	v_add_f64 v[176:177], v[184:185], v[176:177]
	v_mul_f64 v[184:185], v[102:103], s[52:53]
	v_fma_f64 v[74:75], v[84:85], s[38:39], v[150:151]
	v_add_f64 v[70:71], v[82:83], v[80:81]
	v_mul_f64 v[64:65], v[64:65], s[8:9]
	v_fma_f64 v[62:63], v[88:89], s[28:29], -v[60:61]
	v_mul_f64 v[102:103], v[102:103], s[26:27]
	v_add_f64 v[156:157], v[166:167], v[158:159]
	v_fma_f64 v[158:159], v[84:85], s[56:57], v[230:231]
	v_add_f64 v[134:135], v[140:141], v[152:153]
	v_fma_f64 v[140:141], v[88:89], s[40:41], -v[224:225]
	v_add_f64 v[182:183], v[212:213], v[182:183]
	v_fma_f64 v[212:213], v[84:85], s[48:49], v[230:231]
	v_add_f64 v[132:133], v[154:155], v[136:137]
	v_fma_f64 v[90:91], v[84:85], s[36:37], v[150:151]
	v_fma_f64 v[88:89], v[88:89], s[28:29], v[60:61]
	v_add_f64 v[86:87], v[86:87], v[104:105]
	v_add_f64 v[56:57], v[66:67], v[56:57]
	;; [unrolled: 1-line block ×3, first 2 shown]
	v_mul_f64 v[80:81], v[68:69], s[14:15]
	v_fma_f64 v[104:105], v[76:77], s[16:17], v[64:65]
	v_fma_f64 v[64:65], v[76:77], s[26:27], v[64:65]
	v_mul_f64 v[68:69], v[68:69], s[6:7]
	v_mul_f64 v[106:107], v[142:143], s[20:21]
	v_add_f64 v[74:75], v[74:75], v[78:79]
	v_fma_f64 v[78:79], v[128:129], s[8:9], -v[102:103]
	v_add_f64 v[48:49], v[62:63], v[70:71]
	v_add_f64 v[152:153], v[158:159], v[156:157]
	v_fma_f64 v[156:157], v[76:77], s[52:53], v[214:215]
	v_add_f64 v[134:135], v[140:141], v[134:135]
	v_fma_f64 v[140:141], v[128:129], s[42:43], -v[184:185]
	v_mul_f64 v[84:85], v[142:143], s[24:25]
	v_add_f64 v[182:183], v[206:207], v[182:183]
	v_fma_f64 v[206:207], v[128:129], s[50:51], -v[234:235]
	v_fma_f64 v[82:83], v[72:73], s[26:27], v[188:189]
	v_add_f64 v[194:195], v[212:213], v[194:195]
	v_fma_f64 v[212:213], v[76:77], s[46:47], v[214:215]
	v_fma_f64 v[200:201], v[128:129], s[42:43], v[184:185]
	v_add_f64 v[90:91], v[90:91], v[132:133]
	v_fma_f64 v[62:63], v[128:129], s[8:9], v[102:103]
	v_add_f64 v[66:67], v[88:89], v[86:87]
	v_add_f64 v[56:57], v[56:57], v[58:59]
	;; [unrolled: 1-line block ×3, first 2 shown]
	v_fma_f64 v[70:71], v[72:73], s[20:21], v[68:69]
	v_add_f64 v[64:65], v[64:65], v[74:75]
	v_fma_f64 v[74:75], v[138:139], s[6:7], -v[106:107]
	v_add_f64 v[48:49], v[78:79], v[48:49]
	v_add_f64 v[136:137], v[156:157], v[152:153]
	;; [unrolled: 1-line block ×3, first 2 shown]
	v_fma_f64 v[60:61], v[72:73], s[24:25], v[80:81]
	v_fma_f64 v[76:77], v[138:139], s[14:15], v[84:85]
	v_fma_f64 v[84:85], v[138:139], s[14:15], -v[84:85]
	v_add_f64 v[182:183], v[206:207], v[182:183]
	v_add_f64 v[2:3], v[82:83], v[174:175]
	v_fma_f64 v[82:83], v[138:139], s[8:9], -v[186:187]
	v_add_f64 v[194:195], v[212:213], v[194:195]
	v_add_f64 v[158:159], v[200:201], v[176:177]
	v_fma_f64 v[80:81], v[72:73], s[22:23], v[80:81]
	v_fma_f64 v[68:69], v[72:73], s[18:19], v[68:69]
	v_add_f64 v[72:73], v[104:105], v[90:91]
	v_fma_f64 v[78:79], v[138:139], s[6:7], v[106:107]
	v_add_f64 v[66:67], v[62:63], v[66:67]
	v_add_f64 v[56:57], v[56:57], v[52:53]
	;; [unrolled: 1-line block ×12, first 2 shown]
	ds_write_b128 v191, v[54:57]
	ds_write_b128 v99, v[48:51] offset:832
	ds_write_b128 v99, v[58:61] offset:1664
	;; [unrolled: 1-line block ×16, first 2 shown]
.LBB0_20:
	s_or_b64 exec, exec, s[4:5]
	s_waitcnt lgkmcnt(0)
	s_barrier
	ds_read_b128 v[4:7], v191
	s_add_u32 s6, s12, 0x3670
	s_addc_u32 s7, s13, 0
	v_sub_u32_e32 v10, v190, v95
	v_cmp_ne_u32_e32 vcc, 0, v94
                                        ; implicit-def: $vgpr2_vgpr3
                                        ; implicit-def: $vgpr8_vgpr9
	s_and_saveexec_b64 s[4:5], vcc
	s_xor_b64 s[4:5], exec, s[4:5]
	s_cbranch_execz .LBB0_22
; %bb.21:
	v_mov_b32_e32 v95, 0
	v_lshlrev_b64 v[0:1], 4, v[94:95]
	v_mov_b32_e32 v2, s7
	v_add_co_u32_e32 v0, vcc, s6, v0
	v_addc_co_u32_e32 v1, vcc, v2, v1, vcc
	global_load_dwordx4 v[11:14], v[0:1], off
	ds_read_b128 v[0:3], v10 offset:14144
	s_waitcnt lgkmcnt(0)
	v_add_f64 v[8:9], v[4:5], -v[0:1]
	v_add_f64 v[15:16], v[6:7], v[2:3]
	v_add_f64 v[2:3], v[6:7], -v[2:3]
	v_add_f64 v[0:1], v[4:5], v[0:1]
	v_mul_f64 v[6:7], v[8:9], 0.5
	v_mul_f64 v[4:5], v[15:16], 0.5
	;; [unrolled: 1-line block ×3, first 2 shown]
	s_waitcnt vmcnt(0)
	v_mul_f64 v[8:9], v[6:7], v[13:14]
	v_fma_f64 v[15:16], v[4:5], v[13:14], v[2:3]
	v_fma_f64 v[2:3], v[4:5], v[13:14], -v[2:3]
	v_fma_f64 v[17:18], v[0:1], 0.5, v[8:9]
	v_fma_f64 v[0:1], v[0:1], 0.5, -v[8:9]
	v_fma_f64 v[8:9], -v[11:12], v[6:7], v[15:16]
	v_fma_f64 v[2:3], -v[11:12], v[6:7], v[2:3]
	v_fma_f64 v[13:14], v[4:5], v[11:12], v[17:18]
	v_fma_f64 v[0:1], -v[4:5], v[11:12], v[0:1]
                                        ; implicit-def: $vgpr4_vgpr5
	ds_write_b64 v191, v[13:14]
.LBB0_22:
	s_andn2_saveexec_b64 s[4:5], s[4:5]
	s_cbranch_execz .LBB0_24
; %bb.23:
	s_waitcnt lgkmcnt(0)
	v_add_f64 v[2:3], v[4:5], v[6:7]
	ds_read_b64 v[11:12], v190 offset:7080
	v_add_f64 v[0:1], v[4:5], -v[6:7]
	v_mov_b32_e32 v8, 0
	v_mov_b32_e32 v9, 0
	s_waitcnt lgkmcnt(0)
	v_xor_b32_e32 v12, 0x80000000, v12
	ds_write_b64 v190, v[11:12] offset:7080
	ds_write_b64 v191, v[2:3]
	v_mov_b32_e32 v2, v8
	v_mov_b32_e32 v3, v9
.LBB0_24:
	s_or_b64 exec, exec, s[4:5]
	v_mov_b32_e32 v99, 0
	s_waitcnt lgkmcnt(0)
	v_lshlrev_b64 v[4:5], 4, v[98:99]
	v_mov_b32_e32 v6, s7
	v_add_co_u32_e32 v4, vcc, s6, v4
	v_addc_co_u32_e32 v5, vcc, v6, v5, vcc
	global_load_dwordx4 v[4:7], v[4:5], off
	v_mov_b32_e32 v102, v99
	v_lshlrev_b64 v[11:12], 4, v[101:102]
	v_mov_b32_e32 v13, s7
	v_add_co_u32_e32 v11, vcc, s6, v11
	v_addc_co_u32_e32 v12, vcc, v13, v12, vcc
	global_load_dwordx4 v[11:14], v[11:12], off
	ds_write_b64 v191, v[8:9] offset:8
	ds_write_b128 v10, v[0:3] offset:14144
	ds_read_b128 v[0:3], v193
	ds_read_b128 v[15:18], v10 offset:13056
	v_mov_b32_e32 v101, v99
	v_mov_b32_e32 v27, s7
	v_add_u32_e32 v98, 0x110, v94
	v_mov_b32_e32 v28, s7
	s_waitcnt lgkmcnt(0)
	v_add_f64 v[8:9], v[0:1], -v[15:16]
	v_add_f64 v[19:20], v[2:3], v[17:18]
	v_add_f64 v[2:3], v[2:3], -v[17:18]
	v_add_f64 v[0:1], v[0:1], v[15:16]
	v_lshlrev_b64 v[15:16], 4, v[100:101]
	v_mul_f64 v[17:18], v[8:9], 0.5
	v_mul_f64 v[19:20], v[19:20], 0.5
	;; [unrolled: 1-line block ×3, first 2 shown]
	s_waitcnt vmcnt(1)
	v_mul_f64 v[8:9], v[17:18], v[6:7]
	v_fma_f64 v[21:22], v[19:20], v[6:7], v[2:3]
	v_fma_f64 v[6:7], v[19:20], v[6:7], -v[2:3]
	v_fma_f64 v[23:24], v[0:1], 0.5, v[8:9]
	v_fma_f64 v[25:26], v[0:1], 0.5, -v[8:9]
	v_add_co_u32_e32 v0, vcc, s6, v15
	v_addc_co_u32_e32 v1, vcc, v27, v16, vcc
	global_load_dwordx4 v[0:3], v[0:1], off
	v_fma_f64 v[8:9], -v[4:5], v[17:18], v[21:22]
	v_fma_f64 v[17:18], -v[4:5], v[17:18], v[6:7]
	v_fma_f64 v[6:7], v[19:20], v[4:5], v[23:24]
	v_fma_f64 v[15:16], -v[19:20], v[4:5], v[25:26]
	ds_write_b128 v193, v[6:9]
	ds_write_b128 v10, v[15:18] offset:13056
	ds_read_b128 v[4:7], v192
	ds_read_b128 v[15:18], v10 offset:11968
	s_waitcnt lgkmcnt(0)
	v_add_f64 v[8:9], v[4:5], -v[15:16]
	v_add_f64 v[19:20], v[6:7], v[17:18]
	v_add_f64 v[6:7], v[6:7], -v[17:18]
	v_add_f64 v[4:5], v[4:5], v[15:16]
	v_mul_f64 v[8:9], v[8:9], 0.5
	v_mul_f64 v[17:18], v[19:20], 0.5
	;; [unrolled: 1-line block ×3, first 2 shown]
	v_lshlrev_b64 v[19:20], 4, v[98:99]
	v_add_u32_e32 v98, 0x154, v94
	s_waitcnt vmcnt(1)
	v_mul_f64 v[15:16], v[8:9], v[13:14]
	v_fma_f64 v[21:22], v[17:18], v[13:14], v[6:7]
	v_fma_f64 v[13:14], v[17:18], v[13:14], -v[6:7]
	v_fma_f64 v[23:24], v[4:5], 0.5, v[15:16]
	v_fma_f64 v[25:26], v[4:5], 0.5, -v[15:16]
	v_add_co_u32_e32 v4, vcc, s6, v19
	v_addc_co_u32_e32 v5, vcc, v27, v20, vcc
	global_load_dwordx4 v[4:7], v[4:5], off
	v_fma_f64 v[15:16], -v[11:12], v[8:9], v[21:22]
	v_fma_f64 v[19:20], -v[11:12], v[8:9], v[13:14]
	v_fma_f64 v[13:14], v[17:18], v[11:12], v[23:24]
	v_fma_f64 v[17:18], -v[17:18], v[11:12], v[25:26]
	v_lshl_add_u32 v27, v100, 4, v190
	ds_write_b128 v192, v[13:16]
	ds_write_b128 v10, v[17:20] offset:11968
	ds_read_b128 v[11:14], v27
	ds_read_b128 v[15:18], v10 offset:10880
	s_waitcnt lgkmcnt(0)
	v_add_f64 v[8:9], v[11:12], -v[15:16]
	v_add_f64 v[19:20], v[13:14], v[17:18]
	v_add_f64 v[13:14], v[13:14], -v[17:18]
	v_add_f64 v[11:12], v[11:12], v[15:16]
	v_lshlrev_b64 v[17:18], 4, v[98:99]
	v_mul_f64 v[8:9], v[8:9], 0.5
	v_mul_f64 v[19:20], v[19:20], 0.5
	;; [unrolled: 1-line block ×3, first 2 shown]
	s_waitcnt vmcnt(1)
	v_mul_f64 v[15:16], v[8:9], v[2:3]
	v_fma_f64 v[21:22], v[19:20], v[2:3], v[13:14]
	v_fma_f64 v[2:3], v[19:20], v[2:3], -v[13:14]
	v_fma_f64 v[23:24], v[11:12], 0.5, v[15:16]
	v_fma_f64 v[25:26], v[11:12], 0.5, -v[15:16]
	v_add_co_u32_e32 v11, vcc, s6, v17
	v_addc_co_u32_e32 v12, vcc, v28, v18, vcc
	global_load_dwordx4 v[11:14], v[11:12], off
	v_fma_f64 v[17:18], -v[0:1], v[8:9], v[21:22]
	v_fma_f64 v[15:16], v[19:20], v[0:1], v[23:24]
	v_fma_f64 v[2:3], -v[0:1], v[8:9], v[2:3]
	v_fma_f64 v[0:1], -v[19:20], v[0:1], v[25:26]
	v_cmp_gt_u32_e32 vcc, 34, v94
	ds_write_b128 v27, v[15:18]
	ds_write_b128 v10, v[0:3] offset:10880
	ds_read_b128 v[0:3], v191 offset:4352
	ds_read_b128 v[15:18], v10 offset:9792
	s_waitcnt lgkmcnt(0)
	v_add_f64 v[8:9], v[0:1], -v[15:16]
	v_add_f64 v[19:20], v[2:3], v[17:18]
	v_add_f64 v[2:3], v[2:3], -v[17:18]
	v_add_f64 v[0:1], v[0:1], v[15:16]
	v_mul_f64 v[8:9], v[8:9], 0.5
	v_mul_f64 v[17:18], v[19:20], 0.5
	;; [unrolled: 1-line block ×3, first 2 shown]
	s_waitcnt vmcnt(1)
	v_mul_f64 v[15:16], v[8:9], v[6:7]
	v_fma_f64 v[19:20], v[17:18], v[6:7], v[2:3]
	v_fma_f64 v[6:7], v[17:18], v[6:7], -v[2:3]
	v_fma_f64 v[21:22], v[0:1], 0.5, v[15:16]
	v_fma_f64 v[15:16], v[0:1], 0.5, -v[15:16]
	v_fma_f64 v[2:3], -v[4:5], v[8:9], v[19:20]
	v_fma_f64 v[6:7], -v[4:5], v[8:9], v[6:7]
	v_fma_f64 v[0:1], v[17:18], v[4:5], v[21:22]
	v_fma_f64 v[4:5], -v[17:18], v[4:5], v[15:16]
	ds_write_b128 v191, v[0:3] offset:4352
	ds_write_b128 v10, v[4:7] offset:9792
	ds_read_b128 v[0:3], v191 offset:5440
	ds_read_b128 v[4:7], v10 offset:8704
	s_waitcnt lgkmcnt(0)
	v_add_f64 v[8:9], v[0:1], -v[4:5]
	v_add_f64 v[15:16], v[2:3], v[6:7]
	v_add_f64 v[2:3], v[2:3], -v[6:7]
	v_add_f64 v[0:1], v[0:1], v[4:5]
	v_mul_f64 v[6:7], v[8:9], 0.5
	v_mul_f64 v[8:9], v[15:16], 0.5
	;; [unrolled: 1-line block ×3, first 2 shown]
	s_waitcnt vmcnt(0)
	v_mul_f64 v[4:5], v[6:7], v[13:14]
	v_fma_f64 v[15:16], v[8:9], v[13:14], v[2:3]
	v_fma_f64 v[13:14], v[8:9], v[13:14], -v[2:3]
	v_fma_f64 v[17:18], v[0:1], 0.5, v[4:5]
	v_fma_f64 v[4:5], v[0:1], 0.5, -v[4:5]
	v_fma_f64 v[2:3], -v[11:12], v[6:7], v[15:16]
	v_fma_f64 v[6:7], -v[11:12], v[6:7], v[13:14]
	v_fma_f64 v[0:1], v[8:9], v[11:12], v[17:18]
	v_fma_f64 v[4:5], -v[8:9], v[11:12], v[4:5]
	ds_write_b128 v191, v[0:3] offset:5440
	ds_write_b128 v10, v[4:7] offset:8704
	s_and_saveexec_b64 s[4:5], vcc
	s_cbranch_execz .LBB0_26
; %bb.25:
	v_add_u32_e32 v98, 0x198, v94
	v_lshlrev_b64 v[0:1], 4, v[98:99]
	v_mov_b32_e32 v2, s7
	v_add_co_u32_e32 v0, vcc, s6, v0
	v_addc_co_u32_e32 v1, vcc, v2, v1, vcc
	global_load_dwordx4 v[0:3], v[0:1], off
	ds_read_b128 v[4:7], v191 offset:6528
	ds_read_b128 v[11:14], v10 offset:7616
	s_waitcnt lgkmcnt(0)
	v_add_f64 v[8:9], v[4:5], -v[11:12]
	v_add_f64 v[15:16], v[6:7], v[13:14]
	v_add_f64 v[6:7], v[6:7], -v[13:14]
	v_add_f64 v[4:5], v[4:5], v[11:12]
	v_mul_f64 v[8:9], v[8:9], 0.5
	v_mul_f64 v[13:14], v[15:16], 0.5
	;; [unrolled: 1-line block ×3, first 2 shown]
	s_waitcnt vmcnt(0)
	v_mul_f64 v[11:12], v[8:9], v[2:3]
	v_fma_f64 v[15:16], v[13:14], v[2:3], v[6:7]
	v_fma_f64 v[2:3], v[13:14], v[2:3], -v[6:7]
	v_fma_f64 v[6:7], v[4:5], 0.5, v[11:12]
	v_fma_f64 v[11:12], v[4:5], 0.5, -v[11:12]
	v_fma_f64 v[4:5], -v[0:1], v[8:9], v[15:16]
	v_fma_f64 v[8:9], -v[0:1], v[8:9], v[2:3]
	v_fma_f64 v[2:3], v[13:14], v[0:1], v[6:7]
	v_fma_f64 v[6:7], -v[13:14], v[0:1], v[11:12]
	ds_write_b128 v191, v[2:5] offset:6528
	ds_write_b128 v10, v[6:9] offset:7616
.LBB0_26:
	s_or_b64 exec, exec, s[4:5]
	s_waitcnt lgkmcnt(0)
	s_barrier
	s_and_saveexec_b64 s[4:5], s[0:1]
	s_cbranch_execz .LBB0_29
; %bb.27:
	v_mul_lo_u32 v0, s3, v96
	v_mul_lo_u32 v3, s2, v97
	v_mad_u64_u32 v[1:2], s[0:1], s2, v96, 0
	v_mov_b32_e32 v7, s11
	v_mov_b32_e32 v95, 0
	v_add3_u32 v2, v2, v3, v0
	v_lshlrev_b64 v[1:2], 4, v[1:2]
	v_lshl_add_u32 v0, v94, 4, v190
	v_add_co_u32_e32 v1, vcc, s10, v1
	v_addc_co_u32_e32 v9, vcc, v7, v2, vcc
	v_lshlrev_b64 v[7:8], 4, v[92:93]
	ds_read_b128 v[3:6], v0
	v_add_co_u32_e32 v2, vcc, v1, v7
	v_addc_co_u32_e32 v1, vcc, v9, v8, vcc
	v_lshlrev_b64 v[7:8], 4, v[94:95]
	s_movk_i32 s0, 0x43
	v_add_co_u32_e32 v11, vcc, v2, v7
	v_addc_co_u32_e32 v12, vcc, v1, v8, vcc
	ds_read_b128 v[7:10], v0 offset:1088
	s_waitcnt lgkmcnt(1)
	global_store_dwordx4 v[11:12], v[3:6], off
	s_nop 0
	v_add_u32_e32 v3, 0x44, v94
	v_mov_b32_e32 v4, v95
	v_lshlrev_b64 v[3:4], 4, v[3:4]
	v_add_co_u32_e32 v3, vcc, v2, v3
	v_addc_co_u32_e32 v4, vcc, v1, v4, vcc
	s_waitcnt lgkmcnt(0)
	global_store_dwordx4 v[3:4], v[7:10], off
	ds_read_b128 v[3:6], v0 offset:2176
	v_add_u32_e32 v7, 0x88, v94
	v_mov_b32_e32 v8, v95
	v_lshlrev_b64 v[7:8], 4, v[7:8]
	v_add_co_u32_e32 v11, vcc, v2, v7
	v_addc_co_u32_e32 v12, vcc, v1, v8, vcc
	ds_read_b128 v[7:10], v0 offset:3264
	s_waitcnt lgkmcnt(1)
	global_store_dwordx4 v[11:12], v[3:6], off
	s_nop 0
	v_add_u32_e32 v3, 0xcc, v94
	v_mov_b32_e32 v4, v95
	v_lshlrev_b64 v[3:4], 4, v[3:4]
	v_add_co_u32_e32 v3, vcc, v2, v3
	v_addc_co_u32_e32 v4, vcc, v1, v4, vcc
	s_waitcnt lgkmcnt(0)
	global_store_dwordx4 v[3:4], v[7:10], off
	ds_read_b128 v[3:6], v0 offset:4352
	v_add_u32_e32 v7, 0x110, v94
	v_mov_b32_e32 v8, v95
	v_lshlrev_b64 v[7:8], 4, v[7:8]
	;; [unrolled: 17-line block ×6, first 2 shown]
	v_add_co_u32_e32 v7, vcc, v2, v7
	v_addc_co_u32_e32 v8, vcc, v1, v8, vcc
	v_cmp_eq_u32_e32 vcc, s0, v94
	s_waitcnt lgkmcnt(0)
	global_store_dwordx4 v[7:8], v[3:6], off
	s_and_b64 exec, exec, vcc
	s_cbranch_execz .LBB0_29
; %bb.28:
	ds_read_b128 v[3:6], v0 offset:13072
	v_add_co_u32_e32 v0, vcc, 0x3000, v2
	v_addc_co_u32_e32 v1, vcc, 0, v1, vcc
	s_waitcnt lgkmcnt(0)
	global_store_dwordx4 v[0:1], v[3:6], off offset:1856
.LBB0_29:
	s_endpgm
	.section	.rodata,"a",@progbits
	.p2align	6, 0x0
	.amdhsa_kernel fft_rtc_fwd_len884_factors_13_4_17_wgs_204_tpt_68_halfLds_dp_op_CI_CI_unitstride_sbrr_R2C_dirReg
		.amdhsa_group_segment_fixed_size 0
		.amdhsa_private_segment_fixed_size 0
		.amdhsa_kernarg_size 104
		.amdhsa_user_sgpr_count 6
		.amdhsa_user_sgpr_private_segment_buffer 1
		.amdhsa_user_sgpr_dispatch_ptr 0
		.amdhsa_user_sgpr_queue_ptr 0
		.amdhsa_user_sgpr_kernarg_segment_ptr 1
		.amdhsa_user_sgpr_dispatch_id 0
		.amdhsa_user_sgpr_flat_scratch_init 0
		.amdhsa_user_sgpr_private_segment_size 0
		.amdhsa_uses_dynamic_stack 0
		.amdhsa_system_sgpr_private_segment_wavefront_offset 0
		.amdhsa_system_sgpr_workgroup_id_x 1
		.amdhsa_system_sgpr_workgroup_id_y 0
		.amdhsa_system_sgpr_workgroup_id_z 0
		.amdhsa_system_sgpr_workgroup_info 0
		.amdhsa_system_vgpr_workitem_id 0
		.amdhsa_next_free_vgpr 238
		.amdhsa_next_free_sgpr 60
		.amdhsa_reserve_vcc 1
		.amdhsa_reserve_flat_scratch 0
		.amdhsa_float_round_mode_32 0
		.amdhsa_float_round_mode_16_64 0
		.amdhsa_float_denorm_mode_32 3
		.amdhsa_float_denorm_mode_16_64 3
		.amdhsa_dx10_clamp 1
		.amdhsa_ieee_mode 1
		.amdhsa_fp16_overflow 0
		.amdhsa_exception_fp_ieee_invalid_op 0
		.amdhsa_exception_fp_denorm_src 0
		.amdhsa_exception_fp_ieee_div_zero 0
		.amdhsa_exception_fp_ieee_overflow 0
		.amdhsa_exception_fp_ieee_underflow 0
		.amdhsa_exception_fp_ieee_inexact 0
		.amdhsa_exception_int_div_zero 0
	.end_amdhsa_kernel
	.text
.Lfunc_end0:
	.size	fft_rtc_fwd_len884_factors_13_4_17_wgs_204_tpt_68_halfLds_dp_op_CI_CI_unitstride_sbrr_R2C_dirReg, .Lfunc_end0-fft_rtc_fwd_len884_factors_13_4_17_wgs_204_tpt_68_halfLds_dp_op_CI_CI_unitstride_sbrr_R2C_dirReg
                                        ; -- End function
	.section	.AMDGPU.csdata,"",@progbits
; Kernel info:
; codeLenInByte = 16464
; NumSgprs: 64
; NumVgprs: 238
; ScratchSize: 0
; MemoryBound: 0
; FloatMode: 240
; IeeeMode: 1
; LDSByteSize: 0 bytes/workgroup (compile time only)
; SGPRBlocks: 7
; VGPRBlocks: 59
; NumSGPRsForWavesPerEU: 64
; NumVGPRsForWavesPerEU: 238
; Occupancy: 1
; WaveLimiterHint : 1
; COMPUTE_PGM_RSRC2:SCRATCH_EN: 0
; COMPUTE_PGM_RSRC2:USER_SGPR: 6
; COMPUTE_PGM_RSRC2:TRAP_HANDLER: 0
; COMPUTE_PGM_RSRC2:TGID_X_EN: 1
; COMPUTE_PGM_RSRC2:TGID_Y_EN: 0
; COMPUTE_PGM_RSRC2:TGID_Z_EN: 0
; COMPUTE_PGM_RSRC2:TIDIG_COMP_CNT: 0
	.type	__hip_cuid_7aaac1d40fc9fb8d,@object ; @__hip_cuid_7aaac1d40fc9fb8d
	.section	.bss,"aw",@nobits
	.globl	__hip_cuid_7aaac1d40fc9fb8d
__hip_cuid_7aaac1d40fc9fb8d:
	.byte	0                               ; 0x0
	.size	__hip_cuid_7aaac1d40fc9fb8d, 1

	.ident	"AMD clang version 19.0.0git (https://github.com/RadeonOpenCompute/llvm-project roc-6.4.0 25133 c7fe45cf4b819c5991fe208aaa96edf142730f1d)"
	.section	".note.GNU-stack","",@progbits
	.addrsig
	.addrsig_sym __hip_cuid_7aaac1d40fc9fb8d
	.amdgpu_metadata
---
amdhsa.kernels:
  - .args:
      - .actual_access:  read_only
        .address_space:  global
        .offset:         0
        .size:           8
        .value_kind:     global_buffer
      - .offset:         8
        .size:           8
        .value_kind:     by_value
      - .actual_access:  read_only
        .address_space:  global
        .offset:         16
        .size:           8
        .value_kind:     global_buffer
      - .actual_access:  read_only
        .address_space:  global
        .offset:         24
        .size:           8
        .value_kind:     global_buffer
      - .actual_access:  read_only
        .address_space:  global
        .offset:         32
        .size:           8
        .value_kind:     global_buffer
      - .offset:         40
        .size:           8
        .value_kind:     by_value
      - .actual_access:  read_only
        .address_space:  global
        .offset:         48
        .size:           8
        .value_kind:     global_buffer
      - .actual_access:  read_only
        .address_space:  global
        .offset:         56
        .size:           8
        .value_kind:     global_buffer
      - .offset:         64
        .size:           4
        .value_kind:     by_value
      - .actual_access:  read_only
        .address_space:  global
        .offset:         72
        .size:           8
        .value_kind:     global_buffer
      - .actual_access:  read_only
        .address_space:  global
        .offset:         80
        .size:           8
        .value_kind:     global_buffer
      - .actual_access:  read_only
        .address_space:  global
        .offset:         88
        .size:           8
        .value_kind:     global_buffer
      - .actual_access:  write_only
        .address_space:  global
        .offset:         96
        .size:           8
        .value_kind:     global_buffer
    .group_segment_fixed_size: 0
    .kernarg_segment_align: 8
    .kernarg_segment_size: 104
    .language:       OpenCL C
    .language_version:
      - 2
      - 0
    .max_flat_workgroup_size: 204
    .name:           fft_rtc_fwd_len884_factors_13_4_17_wgs_204_tpt_68_halfLds_dp_op_CI_CI_unitstride_sbrr_R2C_dirReg
    .private_segment_fixed_size: 0
    .sgpr_count:     64
    .sgpr_spill_count: 0
    .symbol:         fft_rtc_fwd_len884_factors_13_4_17_wgs_204_tpt_68_halfLds_dp_op_CI_CI_unitstride_sbrr_R2C_dirReg.kd
    .uniform_work_group_size: 1
    .uses_dynamic_stack: false
    .vgpr_count:     238
    .vgpr_spill_count: 0
    .wavefront_size: 64
amdhsa.target:   amdgcn-amd-amdhsa--gfx906
amdhsa.version:
  - 1
  - 2
...

	.end_amdgpu_metadata
